;; amdgpu-corpus repo=ROCm/rocFFT kind=compiled arch=gfx1030 opt=O3
	.text
	.amdgcn_target "amdgcn-amd-amdhsa--gfx1030"
	.amdhsa_code_object_version 6
	.protected	fft_rtc_back_len765_factors_17_3_5_3_wgs_255_tpt_51_halfLds_dp_op_CI_CI_sbrr_dirReg ; -- Begin function fft_rtc_back_len765_factors_17_3_5_3_wgs_255_tpt_51_halfLds_dp_op_CI_CI_sbrr_dirReg
	.globl	fft_rtc_back_len765_factors_17_3_5_3_wgs_255_tpt_51_halfLds_dp_op_CI_CI_sbrr_dirReg
	.p2align	8
	.type	fft_rtc_back_len765_factors_17_3_5_3_wgs_255_tpt_51_halfLds_dp_op_CI_CI_sbrr_dirReg,@function
fft_rtc_back_len765_factors_17_3_5_3_wgs_255_tpt_51_halfLds_dp_op_CI_CI_sbrr_dirReg: ; @fft_rtc_back_len765_factors_17_3_5_3_wgs_255_tpt_51_halfLds_dp_op_CI_CI_sbrr_dirReg
; %bb.0:
	s_clause 0x1
	s_load_dwordx4 s[16:19], s[4:5], 0x18
	s_load_dwordx4 s[12:15], s[4:5], 0x0
	v_mul_u32_u24_e32 v1, 0x506, v0
	v_mov_b32_e32 v4, 0
	v_mov_b32_e32 v5, 0
	s_load_dwordx4 s[8:11], s[4:5], 0x58
	s_waitcnt lgkmcnt(0)
	s_load_dwordx2 s[20:21], s[16:17], 0x0
	s_load_dwordx2 s[2:3], s[18:19], 0x0
	v_lshrrev_b32_e32 v2, 16, v1
	v_mov_b32_e32 v1, 0
	v_cmp_lt_u64_e64 s0, s[14:15], 2
	v_mov_b32_e32 v97, v5
	v_mov_b32_e32 v96, v4
	v_mad_u64_u32 v[68:69], null, s6, 5, v[2:3]
	v_mov_b32_e32 v69, v1
	s_and_b32 vcc_lo, exec_lo, s0
	v_mov_b32_e32 v99, v69
	v_mov_b32_e32 v98, v68
	s_cbranch_vccnz .LBB0_8
; %bb.1:
	s_load_dwordx2 s[0:1], s[4:5], 0x10
	v_mov_b32_e32 v4, 0
	v_mov_b32_e32 v5, 0
	s_add_u32 s6, s18, 8
	v_mov_b32_e32 v6, v68
	s_addc_u32 s7, s19, 0
	v_mov_b32_e32 v7, v69
	v_mov_b32_e32 v97, v5
	s_add_u32 s22, s16, 8
	v_mov_b32_e32 v96, v4
	s_addc_u32 s23, s17, 0
	s_mov_b64 s[26:27], 1
	s_waitcnt lgkmcnt(0)
	s_add_u32 s24, s0, 8
	s_addc_u32 s25, s1, 0
.LBB0_2:                                ; =>This Inner Loop Header: Depth=1
	s_load_dwordx2 s[28:29], s[24:25], 0x0
                                        ; implicit-def: $vgpr98_vgpr99
	s_mov_b32 s0, exec_lo
	s_waitcnt lgkmcnt(0)
	v_or_b32_e32 v2, s29, v7
	v_cmpx_ne_u64_e32 0, v[1:2]
	s_xor_b32 s1, exec_lo, s0
	s_cbranch_execz .LBB0_4
; %bb.3:                                ;   in Loop: Header=BB0_2 Depth=1
	v_cvt_f32_u32_e32 v2, s28
	v_cvt_f32_u32_e32 v3, s29
	s_sub_u32 s0, 0, s28
	s_subb_u32 s30, 0, s29
	v_fmac_f32_e32 v2, 0x4f800000, v3
	v_rcp_f32_e32 v2, v2
	v_mul_f32_e32 v2, 0x5f7ffffc, v2
	v_mul_f32_e32 v3, 0x2f800000, v2
	v_trunc_f32_e32 v3, v3
	v_fmac_f32_e32 v2, 0xcf800000, v3
	v_cvt_u32_f32_e32 v3, v3
	v_cvt_u32_f32_e32 v2, v2
	v_mul_lo_u32 v8, s0, v3
	v_mul_hi_u32 v9, s0, v2
	v_mul_lo_u32 v10, s30, v2
	v_add_nc_u32_e32 v8, v9, v8
	v_mul_lo_u32 v9, s0, v2
	v_add_nc_u32_e32 v8, v8, v10
	v_mul_hi_u32 v10, v2, v9
	v_mul_lo_u32 v11, v2, v8
	v_mul_hi_u32 v12, v2, v8
	v_mul_hi_u32 v13, v3, v9
	v_mul_lo_u32 v9, v3, v9
	v_mul_hi_u32 v14, v3, v8
	v_mul_lo_u32 v8, v3, v8
	v_add_co_u32 v10, vcc_lo, v10, v11
	v_add_co_ci_u32_e32 v11, vcc_lo, 0, v12, vcc_lo
	v_add_co_u32 v9, vcc_lo, v10, v9
	v_add_co_ci_u32_e32 v9, vcc_lo, v11, v13, vcc_lo
	v_add_co_ci_u32_e32 v10, vcc_lo, 0, v14, vcc_lo
	v_add_co_u32 v8, vcc_lo, v9, v8
	v_add_co_ci_u32_e32 v9, vcc_lo, 0, v10, vcc_lo
	v_add_co_u32 v2, vcc_lo, v2, v8
	v_add_co_ci_u32_e32 v3, vcc_lo, v3, v9, vcc_lo
	v_mul_hi_u32 v8, s0, v2
	v_mul_lo_u32 v10, s30, v2
	v_mul_lo_u32 v9, s0, v3
	v_add_nc_u32_e32 v8, v8, v9
	v_mul_lo_u32 v9, s0, v2
	v_add_nc_u32_e32 v8, v8, v10
	v_mul_hi_u32 v10, v2, v9
	v_mul_lo_u32 v11, v2, v8
	v_mul_hi_u32 v12, v2, v8
	v_mul_hi_u32 v13, v3, v9
	v_mul_lo_u32 v9, v3, v9
	v_mul_hi_u32 v14, v3, v8
	v_mul_lo_u32 v8, v3, v8
	v_add_co_u32 v10, vcc_lo, v10, v11
	v_add_co_ci_u32_e32 v11, vcc_lo, 0, v12, vcc_lo
	v_add_co_u32 v9, vcc_lo, v10, v9
	v_add_co_ci_u32_e32 v9, vcc_lo, v11, v13, vcc_lo
	v_add_co_ci_u32_e32 v10, vcc_lo, 0, v14, vcc_lo
	v_add_co_u32 v8, vcc_lo, v9, v8
	v_add_co_ci_u32_e32 v9, vcc_lo, 0, v10, vcc_lo
	v_add_co_u32 v8, vcc_lo, v2, v8
	v_add_co_ci_u32_e32 v10, vcc_lo, v3, v9, vcc_lo
	v_mul_hi_u32 v12, v6, v8
	v_mad_u64_u32 v[8:9], null, v7, v8, 0
	v_mad_u64_u32 v[2:3], null, v6, v10, 0
	v_mad_u64_u32 v[10:11], null, v7, v10, 0
	v_add_co_u32 v2, vcc_lo, v12, v2
	v_add_co_ci_u32_e32 v3, vcc_lo, 0, v3, vcc_lo
	v_add_co_u32 v2, vcc_lo, v2, v8
	v_add_co_ci_u32_e32 v2, vcc_lo, v3, v9, vcc_lo
	v_add_co_ci_u32_e32 v3, vcc_lo, 0, v11, vcc_lo
	v_add_co_u32 v8, vcc_lo, v2, v10
	v_add_co_ci_u32_e32 v9, vcc_lo, 0, v3, vcc_lo
	v_mul_lo_u32 v10, s29, v8
	v_mad_u64_u32 v[2:3], null, s28, v8, 0
	v_mul_lo_u32 v11, s28, v9
	v_sub_co_u32 v2, vcc_lo, v6, v2
	v_add3_u32 v3, v3, v11, v10
	v_sub_nc_u32_e32 v10, v7, v3
	v_subrev_co_ci_u32_e64 v10, s0, s29, v10, vcc_lo
	v_add_co_u32 v11, s0, v8, 2
	v_add_co_ci_u32_e64 v12, s0, 0, v9, s0
	v_sub_co_u32 v13, s0, v2, s28
	v_sub_co_ci_u32_e32 v3, vcc_lo, v7, v3, vcc_lo
	v_subrev_co_ci_u32_e64 v10, s0, 0, v10, s0
	v_cmp_le_u32_e32 vcc_lo, s28, v13
	v_cmp_eq_u32_e64 s0, s29, v3
	v_cndmask_b32_e64 v13, 0, -1, vcc_lo
	v_cmp_le_u32_e32 vcc_lo, s29, v10
	v_cndmask_b32_e64 v14, 0, -1, vcc_lo
	v_cmp_le_u32_e32 vcc_lo, s28, v2
	;; [unrolled: 2-line block ×3, first 2 shown]
	v_cndmask_b32_e64 v15, 0, -1, vcc_lo
	v_cmp_eq_u32_e32 vcc_lo, s29, v10
	v_cndmask_b32_e64 v2, v15, v2, s0
	v_cndmask_b32_e32 v10, v14, v13, vcc_lo
	v_add_co_u32 v13, vcc_lo, v8, 1
	v_add_co_ci_u32_e32 v14, vcc_lo, 0, v9, vcc_lo
	v_cmp_ne_u32_e32 vcc_lo, 0, v10
	v_cndmask_b32_e32 v3, v14, v12, vcc_lo
	v_cndmask_b32_e32 v10, v13, v11, vcc_lo
	v_cmp_ne_u32_e32 vcc_lo, 0, v2
	v_cndmask_b32_e32 v99, v9, v3, vcc_lo
	v_cndmask_b32_e32 v98, v8, v10, vcc_lo
.LBB0_4:                                ;   in Loop: Header=BB0_2 Depth=1
	s_andn2_saveexec_b32 s0, s1
	s_cbranch_execz .LBB0_6
; %bb.5:                                ;   in Loop: Header=BB0_2 Depth=1
	v_cvt_f32_u32_e32 v2, s28
	s_sub_i32 s1, 0, s28
	v_mov_b32_e32 v99, v1
	v_rcp_iflag_f32_e32 v2, v2
	v_mul_f32_e32 v2, 0x4f7ffffe, v2
	v_cvt_u32_f32_e32 v2, v2
	v_mul_lo_u32 v3, s1, v2
	v_mul_hi_u32 v3, v2, v3
	v_add_nc_u32_e32 v2, v2, v3
	v_mul_hi_u32 v2, v6, v2
	v_mul_lo_u32 v3, v2, s28
	v_add_nc_u32_e32 v8, 1, v2
	v_sub_nc_u32_e32 v3, v6, v3
	v_subrev_nc_u32_e32 v9, s28, v3
	v_cmp_le_u32_e32 vcc_lo, s28, v3
	v_cndmask_b32_e32 v3, v3, v9, vcc_lo
	v_cndmask_b32_e32 v2, v2, v8, vcc_lo
	v_cmp_le_u32_e32 vcc_lo, s28, v3
	v_add_nc_u32_e32 v8, 1, v2
	v_cndmask_b32_e32 v98, v2, v8, vcc_lo
.LBB0_6:                                ;   in Loop: Header=BB0_2 Depth=1
	s_or_b32 exec_lo, exec_lo, s0
	v_mul_lo_u32 v8, v99, s28
	v_mul_lo_u32 v9, v98, s29
	s_load_dwordx2 s[0:1], s[22:23], 0x0
	v_mad_u64_u32 v[2:3], null, v98, s28, 0
	s_load_dwordx2 s[28:29], s[6:7], 0x0
	s_add_u32 s26, s26, 1
	s_addc_u32 s27, s27, 0
	s_add_u32 s6, s6, 8
	s_addc_u32 s7, s7, 0
	s_add_u32 s22, s22, 8
	v_add3_u32 v3, v3, v9, v8
	v_sub_co_u32 v2, vcc_lo, v6, v2
	s_addc_u32 s23, s23, 0
	s_add_u32 s24, s24, 8
	v_sub_co_ci_u32_e32 v3, vcc_lo, v7, v3, vcc_lo
	s_addc_u32 s25, s25, 0
	s_waitcnt lgkmcnt(0)
	v_mul_lo_u32 v6, s0, v3
	v_mul_lo_u32 v7, s1, v2
	v_mad_u64_u32 v[4:5], null, s0, v2, v[4:5]
	v_mul_lo_u32 v3, s28, v3
	v_mul_lo_u32 v8, s29, v2
	v_mad_u64_u32 v[96:97], null, s28, v2, v[96:97]
	v_cmp_ge_u64_e64 s0, s[26:27], s[14:15]
	v_add3_u32 v5, v7, v5, v6
	v_add3_u32 v97, v8, v97, v3
	s_and_b32 vcc_lo, exec_lo, s0
	s_cbranch_vccnz .LBB0_8
; %bb.7:                                ;   in Loop: Header=BB0_2 Depth=1
	v_mov_b32_e32 v6, v98
	v_mov_b32_e32 v7, v99
	s_branch .LBB0_2
.LBB0_8:
	s_load_dwordx2 s[0:1], s[4:5], 0x28
	v_mul_hi_u32 v1, 0x5050506, v0
	s_lshl_b64 s[6:7], s[14:15], 3
                                        ; implicit-def: $vgpr6_vgpr7
                                        ; implicit-def: $vgpr18_vgpr19
                                        ; implicit-def: $vgpr22_vgpr23
                                        ; implicit-def: $vgpr26_vgpr27
                                        ; implicit-def: $vgpr30_vgpr31
                                        ; implicit-def: $vgpr34_vgpr35
                                        ; implicit-def: $vgpr38_vgpr39
                                        ; implicit-def: $vgpr10_vgpr11
                                        ; implicit-def: $vgpr14_vgpr15
                                        ; implicit-def: $vgpr46_vgpr47
                                        ; implicit-def: $vgpr50_vgpr51
                                        ; implicit-def: $vgpr58_vgpr59
                                        ; implicit-def: $vgpr62_vgpr63
                                        ; implicit-def: $vgpr42_vgpr43
                                        ; implicit-def: $vgpr54_vgpr55
                                        ; implicit-def: $vgpr66_vgpr67
                                        ; implicit-def: $vgpr2_vgpr3
	s_add_u32 s4, s18, s6
	s_addc_u32 s5, s19, s7
	v_mul_u32_u24_e32 v1, 51, v1
	v_sub_nc_u32_e32 v116, v0, v1
	s_waitcnt lgkmcnt(0)
	v_cmp_gt_u64_e32 vcc_lo, s[0:1], v[98:99]
	v_cmp_gt_u32_e64 s0, 45, v116
	s_and_b32 s1, vcc_lo, s0
	s_and_saveexec_b32 s14, s1
	s_cbranch_execz .LBB0_10
; %bb.9:
	s_add_u32 s6, s16, s6
	s_addc_u32 s7, s17, s7
	v_add_nc_u32_e32 v15, 45, v116
	s_load_dwordx2 s[6:7], s[6:7], 0x0
	v_mad_u64_u32 v[0:1], null, s20, v116, 0
	v_lshlrev_b64 v[2:3], 4, v[4:5]
	v_add_nc_u32_e32 v17, 0x5a, v116
	v_add_nc_u32_e32 v18, 0x87, v116
	v_mad_u64_u32 v[4:5], null, s20, v15, 0
	v_add_nc_u32_e32 v19, 0xb4, v116
	v_mad_u64_u32 v[6:7], null, s20, v17, 0
	v_mad_u64_u32 v[8:9], null, s20, v18, 0
	;; [unrolled: 1-line block ×3, first 2 shown]
	v_mov_b32_e32 v1, v5
	v_mad_u64_u32 v[13:14], null, s20, v19, 0
	v_mov_b32_e32 v5, v7
	v_mov_b32_e32 v7, v9
	s_waitcnt lgkmcnt(0)
	v_mul_lo_u32 v16, s7, v98
	v_mul_lo_u32 v20, s6, v99
	v_mad_u64_u32 v[10:11], null, s6, v98, 0
	v_add_nc_u32_e32 v27, 0x1ef, v116
	v_add_nc_u32_e32 v34, 0x276, v116
	;; [unrolled: 1-line block ×3, first 2 shown]
	v_add3_u32 v11, v11, v20, v16
	v_mad_u64_u32 v[15:16], null, s21, v15, v[1:2]
	v_mov_b32_e32 v1, v12
	v_mad_u64_u32 v[16:17], null, s21, v17, v[5:6]
	v_lshlrev_b64 v[9:10], 4, v[10:11]
	v_mad_u64_u32 v[11:12], null, s21, v18, v[7:8]
	v_mov_b32_e32 v5, v15
	v_lshlrev_b64 v[0:1], 4, v[0:1]
	v_add_nc_u32_e32 v12, 0xe1, v116
	v_add_co_u32 v9, s1, s8, v9
	v_add_co_ci_u32_e64 v10, s1, s9, v10, s1
	v_mov_b32_e32 v7, v16
	v_add_co_u32 v32, s1, v9, v2
	v_add_co_ci_u32_e64 v33, s1, v10, v3, s1
	v_lshlrev_b64 v[2:3], 4, v[4:5]
	v_add_co_u32 v0, s1, v32, v0
	v_mov_b32_e32 v9, v11
	v_add_co_ci_u32_e64 v1, s1, v33, v1, s1
	v_add_co_u32 v4, s1, v32, v2
	v_mov_b32_e32 v2, v14
	v_lshlrev_b64 v[6:7], 4, v[6:7]
	v_mad_u64_u32 v[10:11], null, s20, v12, 0
	v_lshlrev_b64 v[8:9], 4, v[8:9]
	v_add_nc_u32_e32 v17, 0x10e, v116
	v_add_co_ci_u32_e64 v5, s1, v33, v3, s1
	v_mad_u64_u32 v[2:3], null, s21, v19, v[2:3]
	v_add_co_u32 v6, s1, v32, v6
	v_add_co_ci_u32_e64 v7, s1, v33, v7, s1
	v_mov_b32_e32 v3, v11
	v_mad_u64_u32 v[15:16], null, s20, v17, 0
	v_add_nc_u32_e32 v18, 0x13b, v116
	v_add_co_u32 v8, s1, v32, v8
	v_add_co_ci_u32_e64 v9, s1, v33, v9, s1
	v_mov_b32_e32 v14, v2
	v_mad_u64_u32 v[11:12], null, s21, v12, v[3:4]
	s_clause 0x3
	global_load_dwordx4 v[0:3], v[0:1], off
	global_load_dwordx4 v[64:67], v[4:5], off
	;; [unrolled: 1-line block ×4, first 2 shown]
	v_mad_u64_u32 v[7:8], null, s20, v18, 0
	v_mov_b32_e32 v6, v16
	v_lshlrev_b64 v[4:5], 4, v[13:14]
	v_add_nc_u32_e32 v20, 0x195, v116
	v_lshlrev_b64 v[9:10], 4, v[10:11]
	v_mad_u64_u32 v[12:13], null, s21, v17, v[6:7]
	v_add_nc_u32_e32 v17, 0x168, v116
	v_mov_b32_e32 v6, v8
	v_add_co_u32 v4, s1, v32, v4
	v_add_co_ci_u32_e64 v5, s1, v33, v5, s1
	v_mad_u64_u32 v[13:14], null, s20, v17, 0
	v_mov_b32_e32 v16, v12
	v_mad_u64_u32 v[11:12], null, s21, v18, v[6:7]
	v_add_co_u32 v9, s1, v32, v9
	v_add_co_ci_u32_e64 v10, s1, v33, v10, s1
	v_mov_b32_e32 v6, v14
	v_lshlrev_b64 v[14:15], 4, v[15:16]
	v_mov_b32_e32 v8, v11
	s_clause 0x1
	global_load_dwordx4 v[60:63], v[4:5], off
	global_load_dwordx4 v[56:59], v[9:10], off
	v_mad_u64_u32 v[11:12], null, s21, v17, v[6:7]
	v_mad_u64_u32 v[16:17], null, s20, v20, 0
	v_add_co_u32 v18, s1, v32, v14
	v_add_co_ci_u32_e64 v19, s1, v33, v15, s1
	v_add_nc_u32_e32 v15, 0x1c2, v116
	v_mov_b32_e32 v14, v11
	v_lshlrev_b64 v[6:7], 4, v[7:8]
	v_mov_b32_e32 v8, v17
	v_mad_u64_u32 v[11:12], null, s20, v15, 0
	v_mad_u64_u32 v[20:21], null, s21, v20, v[8:9]
	;; [unrolled: 1-line block ×3, first 2 shown]
	v_add_co_u32 v6, s1, v32, v6
	v_mov_b32_e32 v8, v12
	v_lshlrev_b64 v[12:13], 4, v[13:14]
	v_mov_b32_e32 v17, v20
	v_add_nc_u32_e32 v20, 0x21c, v116
	v_add_co_ci_u32_e64 v7, s1, v33, v7, s1
	v_mad_u64_u32 v[14:15], null, s21, v15, v[8:9]
	v_mov_b32_e32 v8, v22
	v_mad_u64_u32 v[23:24], null, s20, v20, 0
	v_add_co_u32 v25, s1, v32, v12
	v_mad_u64_u32 v[27:28], null, s21, v27, v[8:9]
	v_mov_b32_e32 v12, v14
	v_lshlrev_b64 v[15:16], 4, v[16:17]
	v_mov_b32_e32 v8, v24
	v_add_co_ci_u32_e64 v26, s1, v33, v13, s1
	v_lshlrev_b64 v[11:12], 4, v[11:12]
	v_mov_b32_e32 v22, v27
	v_add_nc_u32_e32 v27, 0x249, v116
	v_add_co_u32 v28, s1, v32, v15
	v_add_co_ci_u32_e64 v29, s1, v33, v16, s1
	v_mad_u64_u32 v[13:14], null, s21, v20, v[8:9]
	v_add_co_u32 v16, s1, v32, v11
	v_mad_u64_u32 v[14:15], null, s20, v27, 0
	v_add_co_ci_u32_e64 v17, s1, v33, v12, s1
	v_lshlrev_b64 v[11:12], 4, v[21:22]
	v_mad_u64_u32 v[20:21], null, s20, v34, 0
	v_mov_b32_e32 v24, v13
	v_mov_b32_e32 v8, v15
	s_clause 0x1
	global_load_dwordx4 v[48:51], v[18:19], off
	global_load_dwordx4 v[44:47], v[6:7], off
	v_add_co_u32 v30, s1, v32, v11
	v_add_co_ci_u32_e64 v31, s1, v33, v12, s1
	v_mov_b32_e32 v13, v21
	v_lshlrev_b64 v[11:12], 4, v[23:24]
	v_mad_u64_u32 v[21:22], null, s21, v27, v[8:9]
	v_mad_u64_u32 v[22:23], null, s21, v34, v[13:14]
	;; [unrolled: 1-line block ×3, first 2 shown]
	v_add_nc_u32_e32 v13, 0x2d0, v116
	v_add_co_u32 v69, s1, v32, v11
	v_add_co_ci_u32_e64 v70, s1, v33, v12, s1
	v_mad_u64_u32 v[11:12], null, s20, v13, 0
	v_mov_b32_e32 v8, v24
	v_mov_b32_e32 v15, v21
	;; [unrolled: 1-line block ×3, first 2 shown]
	v_mad_u64_u32 v[4:5], null, s21, v35, v[8:9]
	v_lshlrev_b64 v[6:7], 4, v[14:15]
	v_mov_b32_e32 v5, v12
	v_mad_u64_u32 v[8:9], null, s21, v13, v[5:6]
	v_mov_b32_e32 v24, v4
	v_lshlrev_b64 v[9:10], 4, v[20:21]
	v_add_co_u32 v4, s1, v32, v6
	v_add_co_ci_u32_e64 v5, s1, v33, v7, s1
	v_mov_b32_e32 v12, v8
	v_lshlrev_b64 v[6:7], 4, v[23:24]
	v_add_co_u32 v18, s1, v32, v9
	v_add_co_ci_u32_e64 v19, s1, v33, v10, s1
	v_lshlrev_b64 v[20:21], 4, v[11:12]
	v_add_co_u32 v6, s1, v32, v6
	v_add_co_ci_u32_e64 v7, s1, v33, v7, s1
	s_clause 0x1
	global_load_dwordx4 v[12:15], v[25:26], off
	global_load_dwordx4 v[8:11], v[28:29], off
	v_add_co_u32 v71, s1, v32, v20
	v_add_co_ci_u32_e64 v72, s1, v33, v21, s1
	s_clause 0x6
	global_load_dwordx4 v[36:39], v[16:17], off
	global_load_dwordx4 v[32:35], v[30:31], off
	;; [unrolled: 1-line block ×7, first 2 shown]
.LBB0_10:
	s_or_b32 exec_lo, exec_lo, s14
	v_mul_hi_u32 v69, 0xcccccccd, v68
	v_lshrrev_b32_e32 v69, 2, v69
	v_lshl_add_u32 v69, v69, 2, v69
	v_sub_nc_u32_e32 v68, v68, v69
	v_mul_u32_u24_e32 v68, 0x2fd, v68
	v_lshlrev_b32_e32 v117, 3, v68
	s_and_saveexec_b32 s1, s0
	s_cbranch_execz .LBB0_12
; %bb.11:
	s_waitcnt vmcnt(0)
	v_add_f64 v[70:71], v[4:5], v[64:65]
	s_mov_b32 s6, 0x2b2883cd
	s_mov_b32 s7, 0x3fdc86fa
	v_add_f64 v[68:69], v[66:67], -v[6:7]
	v_add_f64 v[76:77], v[16:17], v[52:53]
	s_mov_b32 s14, 0x7c9e640b
	s_mov_b32 s24, 0x6ed5f1bb
	;; [unrolled: 1-line block ×12, first 2 shown]
	v_add_f64 v[72:73], v[54:55], -v[18:19]
	v_add_f64 v[80:81], v[20:21], v[40:41]
	v_add_f64 v[134:135], v[64:65], v[0:1]
	s_mov_b32 s8, 0x6c9a05f6
	s_mov_b32 s20, 0xeb564b22
	v_mul_f64 v[74:75], v[70:71], s[6:7]
	v_mul_f64 v[78:79], v[70:71], s[30:31]
	;; [unrolled: 1-line block ×7, first 2 shown]
	s_mov_b32 s18, 0x2a9d6da3
	s_mov_b32 s28, 0x7faef3
	;; [unrolled: 1-line block ×15, first 2 shown]
	v_fma_f64 v[118:119], v[68:69], s[14:15], v[74:75]
	s_mov_b32 s46, s42
	v_add_f64 v[84:85], v[42:43], -v[22:23]
	v_add_f64 v[86:87], v[24:25], v[60:61]
	v_mul_f64 v[90:91], v[76:77], s[22:23]
	v_fma_f64 v[120:121], v[68:69], s[18:19], v[78:79]
	v_mul_f64 v[104:105], v[76:77], s[40:41]
	v_fma_f64 v[122:123], v[68:69], s[44:45], v[92:93]
	v_mul_f64 v[102:103], v[80:81], s[28:29]
	v_mul_f64 v[106:107], v[76:77], s[28:29]
	;; [unrolled: 1-line block ×4, first 2 shown]
	v_fma_f64 v[124:125], v[72:73], s[16:17], v[88:89]
	v_fma_f64 v[126:127], v[68:69], s[20:21], v[94:95]
	;; [unrolled: 1-line block ×4, first 2 shown]
	v_add_f64 v[134:135], v[52:53], v[134:135]
	s_mov_b32 s26, 0xacd6c6b4
	s_mov_b32 s58, 0x370991
	;; [unrolled: 1-line block ×5, first 2 shown]
	v_add_f64 v[118:119], v[0:1], v[118:119]
	s_mov_b32 s51, 0x3feca52d
	s_mov_b32 s36, s26
	;; [unrolled: 1-line block ×3, first 2 shown]
	v_add_f64 v[82:83], v[62:63], -v[26:27]
	v_fma_f64 v[128:129], v[72:73], s[20:21], v[90:91]
	v_add_f64 v[120:121], v[0:1], v[120:121]
	v_mul_f64 v[136:137], v[80:81], s[30:31]
	v_fma_f64 v[138:139], v[72:73], s[42:43], v[104:105]
	v_add_f64 v[122:123], v[0:1], v[122:123]
	v_mul_f64 v[140:141], v[86:87], s[34:35]
	v_mul_f64 v[142:143], v[80:81], s[34:35]
	;; [unrolled: 1-line block ×4, first 2 shown]
	v_fma_f64 v[148:149], v[84:85], s[26:27], v[102:103]
	v_fma_f64 v[152:153], v[72:73], s[36:37], v[106:107]
	v_add_f64 v[126:127], v[0:1], v[126:127]
	v_fma_f64 v[154:155], v[72:73], s[50:51], v[114:115]
	v_add_f64 v[130:131], v[0:1], v[130:131]
	;; [unrolled: 2-line block ×3, first 2 shown]
	v_add_f64 v[158:159], v[28:29], v[56:57]
	v_add_f64 v[118:119], v[124:125], v[118:119]
	;; [unrolled: 1-line block ×3, first 2 shown]
	v_mul_f64 v[100:101], v[80:81], s[24:25]
	s_mov_b32 s52, 0x5d8e7cdc
	s_mov_b32 s49, 0x3fe58eea
	;; [unrolled: 1-line block ×4, first 2 shown]
	v_add_f64 v[120:121], v[128:129], v[120:121]
	v_mul_f64 v[128:129], v[86:87], s[6:7]
	v_fma_f64 v[160:161], v[84:85], s[48:49], v[136:137]
	v_add_f64 v[122:123], v[138:139], v[122:123]
	v_add_f64 v[138:139], v[58:59], -v[30:31]
	v_mul_f64 v[162:163], v[86:87], s[58:59]
	v_mul_f64 v[164:165], v[86:87], s[24:25]
	v_fma_f64 v[168:169], v[82:83], s[38:39], v[140:141]
	v_fma_f64 v[170:171], v[84:85], s[38:39], v[142:143]
	v_add_f64 v[126:127], v[152:153], v[126:127]
	v_fma_f64 v[152:153], v[84:85], s[20:21], v[144:145]
	v_add_f64 v[130:131], v[154:155], v[130:131]
	;; [unrolled: 2-line block ×3, first 2 shown]
	v_mul_f64 v[156:157], v[158:159], s[30:31]
	v_add_f64 v[118:119], v[148:149], v[118:119]
	v_add_f64 v[134:135], v[60:61], v[134:135]
	v_fma_f64 v[150:151], v[84:85], s[16:17], v[100:101]
	v_mul_f64 v[124:125], v[86:87], s[28:29]
	s_mov_b32 s55, 0x3fd71e95
	s_mov_b32 s54, s52
	v_mul_f64 v[178:179], v[158:159], s[6:7]
	v_mul_f64 v[180:181], v[158:159], s[58:59]
	v_fma_f64 v[174:175], v[82:83], s[14:15], v[128:129]
	v_mul_f64 v[166:167], v[86:87], s[40:41]
	v_add_f64 v[122:123], v[160:161], v[122:123]
	v_add_f64 v[160:161], v[32:33], v[48:49]
	v_fma_f64 v[182:183], v[82:83], s[54:55], v[162:163]
	v_mul_f64 v[148:149], v[70:71], s[28:29]
	v_add_f64 v[186:187], v[50:51], -v[34:35]
	v_add_f64 v[192:193], v[36:37], v[44:45]
	v_add_f64 v[126:127], v[170:171], v[126:127]
	v_fma_f64 v[170:171], v[82:83], s[8:9], v[164:165]
	v_add_f64 v[130:131], v[152:153], v[130:131]
	v_mul_f64 v[172:173], v[158:159], s[40:41]
	v_add_f64 v[132:133], v[154:155], v[132:133]
	v_fma_f64 v[154:155], v[138:139], s[48:49], v[156:157]
	v_add_f64 v[118:119], v[168:169], v[118:119]
	v_add_f64 v[134:135], v[56:57], v[134:135]
	;; [unrolled: 1-line block ×3, first 2 shown]
	v_fma_f64 v[150:151], v[82:83], s[36:37], v[124:125]
	v_mul_f64 v[168:169], v[76:77], s[58:59]
	s_mov_b32 s57, 0x3fefdd0d
	v_fma_f64 v[200:201], v[138:139], s[14:15], v[178:179]
	s_mov_b32 s56, s20
	v_add_f64 v[206:207], v[46:47], -v[38:39]
	v_fma_f64 v[152:153], v[82:83], s[46:47], v[166:167]
	v_add_f64 v[122:123], v[174:175], v[122:123]
	v_mul_f64 v[174:175], v[160:161], s[40:41]
	v_mul_f64 v[70:71], v[70:71], s[58:59]
	v_fma_f64 v[184:185], v[68:69], s[26:27], v[148:149]
	v_fma_f64 v[112:113], v[68:69], s[42:43], v[112:113]
	v_mul_f64 v[214:215], v[192:193], s[24:25]
	v_add_f64 v[126:127], v[182:183], v[126:127]
	v_fma_f64 v[182:183], v[138:139], s[52:53], v[180:181]
	v_add_f64 v[130:131], v[170:171], v[130:131]
	v_fma_f64 v[188:189], v[138:139], s[42:43], v[172:173]
	v_mul_f64 v[190:191], v[160:161], s[58:59]
	v_fma_f64 v[148:149], v[68:69], s[36:37], v[148:149]
	v_add_f64 v[118:119], v[154:155], v[118:119]
	v_mul_f64 v[154:155], v[160:161], s[28:29]
	v_add_f64 v[134:135], v[48:49], v[134:135]
	v_add_f64 v[120:121], v[150:151], v[120:121]
	v_mul_f64 v[150:151], v[158:159], s[22:23]
	v_mul_f64 v[202:203], v[80:81], s[40:41]
	v_fma_f64 v[108:109], v[68:69], s[8:9], v[108:109]
	v_mul_f64 v[76:77], v[76:77], s[30:31]
	v_fma_f64 v[92:93], v[68:69], s[38:39], v[92:93]
	v_add_f64 v[132:133], v[152:153], v[132:133]
	v_fma_f64 v[152:153], v[72:73], s[52:53], v[168:169]
	v_fma_f64 v[212:213], v[186:187], s[46:47], v[174:175]
	;; [unrolled: 1-line block ×3, first 2 shown]
	v_add_f64 v[170:171], v[0:1], v[184:185]
	v_add_f64 v[112:113], v[0:1], v[112:113]
	v_mul_f64 v[204:205], v[160:161], s[30:31]
	v_add_f64 v[126:127], v[200:201], v[126:127]
	v_fma_f64 v[168:169], v[72:73], s[54:55], v[168:169]
	v_add_f64 v[130:131], v[182:183], v[130:131]
	v_fma_f64 v[94:95], v[68:69], s[56:57], v[94:95]
	v_fma_f64 v[74:75], v[68:69], s[50:51], v[74:75]
	v_add_f64 v[148:149], v[0:1], v[148:149]
	v_fma_f64 v[78:79], v[68:69], s[48:49], v[78:79]
	v_fma_f64 v[216:217], v[186:187], s[36:37], v[154:155]
	v_add_f64 v[134:135], v[44:45], v[134:135]
	v_add_f64 v[120:121], v[188:189], v[120:121]
	v_fma_f64 v[184:185], v[138:139], s[56:57], v[150:151]
	v_fma_f64 v[188:189], v[186:187], s[52:53], v[190:191]
	;; [unrolled: 1-line block ×3, first 2 shown]
	v_add_f64 v[108:109], v[0:1], v[108:109]
	v_mul_f64 v[80:81], v[80:81], s[6:7]
	v_fma_f64 v[104:105], v[72:73], s[46:47], v[104:105]
	v_add_f64 v[92:93], v[0:1], v[92:93]
	v_fma_f64 v[106:107], v[72:73], s[26:27], v[106:107]
	v_fma_f64 v[88:89], v[72:73], s[8:9], v[88:89]
	v_add_f64 v[152:153], v[152:153], v[170:171]
	v_fma_f64 v[170:171], v[84:85], s[42:43], v[202:203]
	v_add_f64 v[112:113], v[114:115], v[112:113]
	v_add_f64 v[126:127], v[212:213], v[126:127]
	v_fma_f64 v[212:213], v[206:207], s[8:9], v[214:215]
	v_fma_f64 v[202:203], v[84:85], s[46:47], v[202:203]
	v_add_f64 v[94:95], v[0:1], v[94:95]
	v_add_f64 v[74:75], v[0:1], v[74:75]
	;; [unrolled: 1-line block ×3, first 2 shown]
	v_fma_f64 v[90:91], v[72:73], s[56:57], v[90:91]
	v_add_f64 v[130:131], v[216:217], v[130:131]
	v_fma_f64 v[216:217], v[68:69], s[52:53], v[70:71]
	v_add_f64 v[134:135], v[12:13], v[134:135]
	v_add_f64 v[132:133], v[184:185], v[132:133]
	v_mul_f64 v[184:185], v[86:87], s[30:31]
	v_fma_f64 v[68:69], v[68:69], s[54:55], v[70:71]
	v_add_f64 v[118:119], v[188:189], v[118:119]
	v_fma_f64 v[188:189], v[186:187], s[18:19], v[204:205]
	v_add_f64 v[78:79], v[0:1], v[78:79]
	v_mul_f64 v[176:177], v[158:159], s[28:29]
	v_add_f64 v[108:109], v[110:111], v[108:109]
	v_fma_f64 v[110:111], v[84:85], s[54:55], v[146:147]
	v_mul_f64 v[86:87], v[86:87], s[22:23]
	v_add_f64 v[152:153], v[170:171], v[152:153]
	v_add_f64 v[92:93], v[104:105], v[92:93]
	v_fma_f64 v[104:105], v[84:85], s[18:19], v[136:137]
	v_add_f64 v[126:127], v[212:213], v[126:127]
	v_mul_f64 v[194:195], v[160:161], s[34:35]
	v_add_f64 v[94:95], v[106:107], v[94:95]
	v_fma_f64 v[106:107], v[84:85], s[44:45], v[142:143]
	v_add_f64 v[148:149], v[202:203], v[148:149]
	v_add_f64 v[74:75], v[88:89], v[74:75]
	v_fma_f64 v[88:89], v[84:85], s[36:37], v[102:103]
	v_add_f64 v[212:213], v[0:1], v[216:217]
	v_fma_f64 v[216:217], v[72:73], s[18:19], v[76:77]
	;; [unrolled: 2-line block ×3, first 2 shown]
	v_fma_f64 v[72:73], v[72:73], s[48:49], v[76:77]
	v_add_f64 v[0:1], v[0:1], v[68:69]
	v_fma_f64 v[134:135], v[84:85], s[56:57], v[144:145]
	v_fma_f64 v[76:77], v[84:85], s[14:15], v[80:81]
	v_add_f64 v[132:133], v[188:189], v[132:133]
	v_mul_f64 v[188:189], v[158:159], s[24:25]
	v_add_f64 v[78:79], v[90:91], v[78:79]
	v_fma_f64 v[90:91], v[84:85], s[8:9], v[100:101]
	v_fma_f64 v[80:81], v[84:85], s[50:51], v[80:81]
	v_mul_f64 v[196:197], v[160:161], s[22:23]
	v_fma_f64 v[198:199], v[138:139], s[36:37], v[176:177]
	v_fma_f64 v[100:101], v[82:83], s[16:17], v[164:165]
	v_add_f64 v[108:109], v[110:111], v[108:109]
	v_fma_f64 v[110:111], v[82:83], s[42:43], v[166:167]
	v_add_f64 v[92:93], v[104:105], v[92:93]
	v_fma_f64 v[104:105], v[82:83], s[50:51], v[128:129]
	v_mul_f64 v[128:129], v[158:159], s[34:35]
	v_add_f64 v[94:95], v[106:107], v[94:95]
	v_fma_f64 v[106:107], v[82:83], s[52:53], v[162:163]
	v_add_f64 v[144:145], v[216:217], v[212:213]
	v_add_f64 v[114:115], v[36:37], v[114:115]
	;; [unrolled: 1-line block ×3, first 2 shown]
	v_fma_f64 v[170:171], v[82:83], s[48:49], v[184:185]
	v_add_f64 v[0:1], v[72:73], v[0:1]
	v_add_f64 v[102:103], v[134:135], v[112:113]
	v_fma_f64 v[112:113], v[82:83], s[20:21], v[86:87]
	v_add_f64 v[74:75], v[88:89], v[74:75]
	v_fma_f64 v[142:143], v[138:139], s[16:17], v[188:189]
	v_fma_f64 v[88:89], v[82:83], s[44:45], v[140:141]
	v_add_f64 v[78:79], v[90:91], v[78:79]
	v_fma_f64 v[90:91], v[82:83], s[26:27], v[124:125]
	;; [unrolled: 3-line block ×3, first 2 shown]
	v_mul_f64 v[210:211], v[192:193], s[6:7]
	v_fma_f64 v[200:201], v[186:187], s[56:57], v[196:197]
	v_mul_f64 v[182:183], v[192:193], s[58:59]
	v_fma_f64 v[152:153], v[138:139], s[8:9], v[188:189]
	v_add_f64 v[108:109], v[110:111], v[108:109]
	v_fma_f64 v[86:87], v[138:139], s[54:55], v[180:181]
	v_add_f64 v[92:93], v[104:105], v[92:93]
	v_add_f64 v[76:77], v[76:77], v[144:145]
	;; [unrolled: 1-line block ×3, first 2 shown]
	v_fma_f64 v[104:105], v[138:139], s[44:45], v[128:129]
	v_add_f64 v[136:137], v[170:171], v[148:149]
	v_add_f64 v[0:1], v[80:81], v[0:1]
	;; [unrolled: 1-line block ×3, first 2 shown]
	v_mul_f64 v[102:103], v[160:161], s[6:7]
	v_mul_f64 v[124:125], v[160:161], s[24:25]
	v_add_f64 v[94:95], v[106:107], v[94:95]
	v_fma_f64 v[146:147], v[138:139], s[50:51], v[178:179]
	v_add_f64 v[74:75], v[88:89], v[74:75]
	v_fma_f64 v[148:149], v[138:139], s[18:19], v[156:157]
	;; [unrolled: 2-line block ×3, first 2 shown]
	v_fma_f64 v[128:129], v[138:139], s[38:39], v[128:129]
	v_mul_f64 v[208:209], v[192:193], s[22:23]
	v_add_f64 v[68:69], v[8:9], v[12:13]
	v_add_f64 v[120:121], v[198:199], v[120:121]
	v_fma_f64 v[198:199], v[206:207], s[50:51], v[210:211]
	v_add_f64 v[122:123], v[200:201], v[122:123]
	v_fma_f64 v[200:201], v[206:207], s[52:53], v[182:183]
	v_mul_f64 v[220:221], v[192:193], s[30:31]
	v_add_f64 v[76:77], v[112:113], v[76:77]
	v_fma_f64 v[112:113], v[138:139], s[20:21], v[150:151]
	v_add_f64 v[114:115], v[28:29], v[114:115]
	v_add_f64 v[136:137], v[142:143], v[136:137]
	v_fma_f64 v[142:143], v[138:139], s[26:27], v[176:177]
	v_add_f64 v[0:1], v[82:83], v[0:1]
	v_mul_f64 v[168:169], v[192:193], s[28:29]
	v_add_f64 v[70:71], v[152:153], v[70:71]
	v_fma_f64 v[150:151], v[186:187], s[14:15], v[102:103]
	v_mul_f64 v[138:139], v[192:193], s[34:35]
	v_fma_f64 v[102:103], v[186:187], s[50:51], v[102:103]
	v_add_f64 v[86:87], v[86:87], v[100:101]
	v_fma_f64 v[152:153], v[186:187], s[26:27], v[154:155]
	v_mul_f64 v[154:155], v[192:193], s[40:41]
	v_add_f64 v[94:95], v[146:147], v[94:95]
	v_fma_f64 v[146:147], v[186:187], s[42:43], v[174:175]
	v_add_f64 v[74:75], v[148:149], v[74:75]
	v_fma_f64 v[148:149], v[186:187], s[54:55], v[190:191]
	;; [unrolled: 2-line block ×3, first 2 shown]
	v_fma_f64 v[218:219], v[206:207], s[20:21], v[208:209]
	v_add_f64 v[84:85], v[14:15], -v[10:11]
	v_add_f64 v[76:77], v[104:105], v[76:77]
	v_add_f64 v[108:109], v[112:113], v[108:109]
	v_fma_f64 v[112:113], v[186:187], s[48:49], v[204:205]
	v_fma_f64 v[104:105], v[186:187], s[16:17], v[124:125]
	v_add_f64 v[114:115], v[24:25], v[114:115]
	v_add_f64 v[92:93], v[142:143], v[92:93]
	v_fma_f64 v[142:143], v[186:187], s[20:21], v[196:197]
	v_fma_f64 v[124:125], v[186:187], s[8:9], v[124:125]
	v_add_f64 v[0:1], v[128:129], v[0:1]
	v_mul_f64 v[72:73], v[68:69], s[40:41]
	v_mul_f64 v[134:135], v[68:69], s[58:59]
	;; [unrolled: 1-line block ×4, first 2 shown]
	v_add_f64 v[120:121], v[198:199], v[120:121]
	v_add_f64 v[122:123], v[200:201], v[122:123]
	v_fma_f64 v[198:199], v[206:207], s[48:49], v[220:221]
	v_fma_f64 v[200:201], v[206:207], s[36:37], v[168:169]
	v_mul_f64 v[82:83], v[68:69], s[34:35]
	v_mul_f64 v[100:101], v[68:69], s[6:7]
	v_add_f64 v[70:71], v[150:151], v[70:71]
	v_fma_f64 v[150:151], v[206:207], s[38:39], v[138:139]
	v_mul_f64 v[128:129], v[68:69], s[22:23]
	v_add_f64 v[102:103], v[102:103], v[136:137]
	v_fma_f64 v[136:137], v[206:207], s[44:45], v[138:139]
	v_add_f64 v[86:87], v[152:153], v[86:87]
	v_fma_f64 v[138:139], v[206:207], s[18:19], v[220:221]
	v_add_f64 v[108:109], v[112:113], v[108:109]
	v_fma_f64 v[112:113], v[206:207], s[26:27], v[168:169]
	v_add_f64 v[76:77], v[104:105], v[76:77]
	v_fma_f64 v[104:105], v[206:207], s[46:47], v[154:155]
	v_mul_f64 v[68:69], v[68:69], s[28:29]
	v_add_f64 v[114:115], v[20:21], v[114:115]
	v_add_f64 v[92:93], v[142:143], v[92:93]
	v_fma_f64 v[142:143], v[206:207], s[54:55], v[182:183]
	v_add_f64 v[94:95], v[146:147], v[94:95]
	v_fma_f64 v[146:147], v[206:207], s[16:17], v[214:215]
	;; [unrolled: 2-line block ×4, first 2 shown]
	v_fma_f64 v[154:155], v[206:207], s[42:43], v[154:155]
	v_add_f64 v[0:1], v[124:125], v[0:1]
	v_add_f64 v[118:119], v[218:219], v[118:119]
	v_fma_f64 v[80:81], v[84:85], s[46:47], v[72:73]
	v_fma_f64 v[110:111], v[84:85], s[54:55], v[134:135]
	;; [unrolled: 1-line block ×4, first 2 shown]
	v_add_f64 v[130:131], v[198:199], v[130:131]
	v_add_f64 v[132:133], v[200:201], v[132:133]
	v_fma_f64 v[152:153], v[84:85], s[44:45], v[82:83]
	v_fma_f64 v[124:125], v[84:85], s[50:51], v[100:101]
	v_add_f64 v[70:71], v[150:151], v[70:71]
	v_fma_f64 v[150:151], v[84:85], s[20:21], v[128:129]
	v_add_f64 v[102:103], v[136:137], v[102:103]
	;; [unrolled: 2-line block ×6, first 2 shown]
	v_add_f64 v[92:93], v[142:143], v[92:93]
	v_fma_f64 v[114:115], v[84:85], s[8:9], v[144:145]
	v_add_f64 v[94:95], v[146:147], v[94:95]
	v_fma_f64 v[136:137], v[84:85], s[18:19], v[140:141]
	;; [unrolled: 2-line block ×4, first 2 shown]
	v_fma_f64 v[68:69], v[84:85], s[26:27], v[68:69]
	v_add_f64 v[0:1], v[154:155], v[0:1]
	v_add_f64 v[80:81], v[80:81], v[118:119]
	;; [unrolled: 1-line block ×18, first 2 shown]
	v_mul_u32_u24_e32 v68, 0x88, v116
	v_add3_u32 v68, 0, v68, v117
	ds_write2_b64 v68, v[84:85], v[80:81] offset0:2 offset1:3
	ds_write2_b64 v68, v[88:89], v[106:107] offset0:4 offset1:5
	ds_write2_b64 v68, v[118:119], v[110:111] offset0:6 offset1:7
	ds_write2_b64 v68, v[102:103], v[70:71] offset0:8 offset1:9
	ds_write2_b64 v68, v[82:83], v[86:87] offset0:10 offset1:11
	ds_write2_b64 v68, v[100:101], v[76:77] offset1:1
	ds_write2_b64 v68, v[92:93], v[94:95] offset0:12 offset1:13
	ds_write2_b64 v68, v[72:73], v[74:75] offset0:14 offset1:15
	ds_write_b64 v68, v[0:1] offset:128
.LBB0_12:
	s_or_b32 exec_lo, exec_lo, s1
	s_waitcnt vmcnt(16)
	v_lshlrev_b32_e32 v0, 3, v116
	s_waitcnt vmcnt(0) lgkmcnt(0)
	s_barrier
	buffer_gl0_inv
	v_add_nc_u32_e32 v105, 0, v0
	v_add3_u32 v100, 0, v117, v0
	v_add_nc_u32_e32 v101, v105, v117
	ds_read_b64 v[0:1], v100
	v_add_nc_u32_e32 v104, 0x400, v101
	v_add_nc_u32_e32 v102, 0x800, v101
	;; [unrolled: 1-line block ×3, first 2 shown]
	ds_read2_b64 v[72:75], v101 offset0:51 offset1:102
	ds_read2_b64 v[68:71], v101 offset0:153 offset1:204
	;; [unrolled: 1-line block ×7, first 2 shown]
	s_waitcnt lgkmcnt(0)
	s_barrier
	buffer_gl0_inv
	s_and_saveexec_b32 s33, s0
	s_cbranch_execz .LBB0_14
; %bb.13:
	v_add_f64 v[106:107], v[66:67], v[2:3]
	v_add_f64 v[4:5], v[64:65], -v[4:5]
	v_add_f64 v[20:21], v[40:41], -v[20:21]
	s_mov_b32 s28, 0x5d8e7cdc
	s_mov_b32 s46, 0x2a9d6da3
	;; [unrolled: 1-line block ×15, first 2 shown]
	v_add_f64 v[66:67], v[6:7], v[66:67]
	s_mov_b32 s37, 0xbfc7851a
	v_add_f64 v[16:17], v[52:53], -v[16:17]
	v_add_f64 v[52:53], v[22:23], v[42:43]
	v_add_f64 v[64:65], v[54:55], v[106:107]
	v_add_f64 v[36:37], v[44:45], -v[36:37]
	v_mul_f64 v[44:45], v[4:5], s[28:29]
	v_mul_f64 v[106:107], v[4:5], s[34:35]
	;; [unrolled: 1-line block ×5, first 2 shown]
	s_mov_b32 s0, 0x370991
	s_mov_b32 s6, 0x75d4884
	;; [unrolled: 1-line block ×15, first 2 shown]
	v_add_f64 v[40:41], v[42:43], v[64:65]
	v_add_f64 v[42:43], v[26:27], v[62:63]
	v_mul_f64 v[64:65], v[4:5], s[48:49]
	s_mov_b32 s21, 0xbfeb34fa
	s_mov_b32 s24, 0x7faef3
	;; [unrolled: 1-line block ×7, first 2 shown]
	v_add_f64 v[54:55], v[18:19], v[54:55]
	s_mov_b32 s41, 0x3fd71e95
	v_add_f64 v[24:25], v[60:61], -v[24:25]
	v_add_f64 v[28:29], v[56:57], -v[28:29]
	s_mov_b32 s40, s28
	v_mul_f64 v[114:115], v[16:17], s[46:47]
	v_mul_f64 v[118:119], v[16:17], s[34:35]
	;; [unrolled: 1-line block ×5, first 2 shown]
	v_fma_f64 v[186:187], v[66:67], s[0:1], -v[44:45]
	v_fma_f64 v[44:45], v[66:67], s[0:1], v[44:45]
	v_add_f64 v[40:41], v[62:63], v[40:41]
	v_mul_f64 v[62:63], v[4:5], s[46:47]
	v_mul_f64 v[4:5], v[4:5], s[36:37]
	v_fma_f64 v[190:191], v[66:67], s[8:9], -v[64:65]
	v_fma_f64 v[64:65], v[66:67], s[8:9], v[64:65]
	v_fma_f64 v[192:193], v[66:67], s[14:15], -v[106:107]
	v_fma_f64 v[106:107], v[66:67], s[14:15], v[106:107]
	v_fma_f64 v[194:195], v[66:67], s[16:17], -v[108:109]
	v_mul_f64 v[126:127], v[16:17], s[54:55]
	v_mul_f64 v[128:129], v[16:17], s[38:39]
	v_fma_f64 v[196:197], v[66:67], s[18:19], -v[110:111]
	v_fma_f64 v[110:111], v[66:67], s[18:19], v[110:111]
	v_fma_f64 v[198:199], v[66:67], s[20:21], -v[112:113]
	v_add_f64 v[32:33], v[48:49], -v[32:33]
	v_add_f64 v[48:49], v[38:39], v[46:47]
	v_mul_f64 v[16:17], v[16:17], s[40:41]
	v_fma_f64 v[112:113], v[66:67], s[20:21], v[112:113]
	v_fma_f64 v[108:109], v[66:67], s[16:17], v[108:109]
	s_mov_b32 s57, 0x3fc7851a
	s_mov_b32 s43, 0x3fe58eea
	;; [unrolled: 1-line block ×4, first 2 shown]
	v_add_f64 v[40:41], v[58:59], v[40:41]
	v_fma_f64 v[188:189], v[66:67], s[6:7], -v[62:63]
	v_fma_f64 v[62:63], v[66:67], s[6:7], v[62:63]
	s_mov_b32 s56, s36
	s_mov_b32 s42, s46
	;; [unrolled: 1-line block ×4, first 2 shown]
	v_add_f64 v[60:61], v[30:31], v[58:59]
	v_mul_f64 v[130:131], v[20:21], s[48:49]
	v_mul_f64 v[132:133], v[20:21], s[26:27]
	;; [unrolled: 1-line block ×14, first 2 shown]
	v_add_f64 v[40:41], v[50:51], v[40:41]
	v_mul_f64 v[154:155], v[24:25], s[50:51]
	v_mul_f64 v[24:25], v[24:25], s[42:43]
	;; [unrolled: 1-line block ×10, first 2 shown]
	v_fma_f64 v[200:201], v[54:55], s[14:15], -v[118:119]
	v_fma_f64 v[118:119], v[54:55], s[14:15], v[118:119]
	v_fma_f64 v[202:203], v[54:55], s[18:19], -v[120:121]
	v_fma_f64 v[120:121], v[54:55], s[18:19], v[120:121]
	;; [unrolled: 2-line block ×3, first 2 shown]
	v_fma_f64 v[206:207], v[54:55], s[20:21], -v[124:125]
	v_add_f64 v[186:187], v[2:3], v[186:187]
	v_add_f64 v[44:45], v[2:3], v[44:45]
	;; [unrolled: 1-line block ×5, first 2 shown]
	v_fma_f64 v[46:47], v[66:67], s[24:25], -v[4:5]
	v_fma_f64 v[4:5], v[66:67], s[24:25], v[4:5]
	v_fma_f64 v[66:67], v[54:55], s[6:7], -v[114:115]
	v_fma_f64 v[114:115], v[54:55], s[6:7], v[114:115]
	v_add_f64 v[190:191], v[2:3], v[190:191]
	v_add_f64 v[64:65], v[2:3], v[64:65]
	;; [unrolled: 1-line block ×5, first 2 shown]
	v_fma_f64 v[208:209], v[54:55], s[16:17], -v[126:127]
	v_fma_f64 v[126:127], v[54:55], s[16:17], v[126:127]
	v_fma_f64 v[210:211], v[54:55], s[8:9], -v[128:129]
	v_add_f64 v[110:111], v[2:3], v[110:111]
	v_add_f64 v[198:199], v[2:3], v[198:199]
	v_fma_f64 v[128:129], v[54:55], s[8:9], v[128:129]
	v_fma_f64 v[212:213], v[54:55], s[0:1], -v[16:17]
	v_add_f64 v[112:113], v[2:3], v[112:113]
	v_add_f64 v[56:57], v[34:35], v[50:51]
	v_fma_f64 v[16:17], v[54:55], s[0:1], v[16:17]
	v_add_f64 v[108:109], v[2:3], v[108:109]
	v_add_f64 v[196:197], v[2:3], v[196:197]
	;; [unrolled: 1-line block ×5, first 2 shown]
	v_fma_f64 v[124:125], v[54:55], s[20:21], v[124:125]
	v_fma_f64 v[54:55], v[52:53], s[8:9], -v[130:131]
	v_fma_f64 v[130:131], v[52:53], s[8:9], v[130:131]
	v_fma_f64 v[214:215], v[52:53], s[18:19], -v[132:133]
	;; [unrolled: 2-line block ×9, first 2 shown]
	v_fma_f64 v[142:143], v[42:43], s[14:15], v[142:143]
	v_add_f64 v[40:41], v[10:11], v[40:41]
	v_fma_f64 v[228:229], v[42:43], s[24:25], -v[144:145]
	v_fma_f64 v[144:145], v[42:43], s[24:25], v[144:145]
	v_fma_f64 v[230:231], v[42:43], s[16:17], -v[146:147]
	v_fma_f64 v[146:147], v[42:43], s[16:17], v[146:147]
	;; [unrolled: 2-line block ×10, first 2 shown]
	v_fma_f64 v[246:247], v[60:61], s[8:9], -v[162:163]
	v_add_f64 v[38:39], v[38:39], v[40:41]
	v_fma_f64 v[162:163], v[60:61], s[8:9], v[162:163]
	v_fma_f64 v[40:41], v[60:61], s[24:25], -v[164:165]
	v_fma_f64 v[164:165], v[60:61], s[24:25], v[164:165]
	v_fma_f64 v[248:249], v[60:61], s[14:15], -v[166:167]
	;; [unrolled: 2-line block ×3, first 2 shown]
	v_add_f64 v[4:5], v[66:67], v[186:187]
	v_add_f64 v[44:45], v[114:115], v[44:45]
	;; [unrolled: 1-line block ×5, first 2 shown]
	v_fma_f64 v[118:119], v[60:61], s[18:19], -v[28:29]
	v_add_f64 v[64:65], v[120:121], v[64:65]
	v_fma_f64 v[28:29], v[60:61], s[18:19], v[28:29]
	v_add_f64 v[106:107], v[122:123], v[106:107]
	v_add_f64 v[110:111], v[126:127], v[110:111]
	;; [unrolled: 1-line block ×8, first 2 shown]
	v_fma_f64 v[38:39], v[60:61], s[0:1], v[168:169]
	v_add_f64 v[60:61], v[204:205], v[192:193]
	v_add_f64 v[168:169], v[206:207], v[194:195]
	;; [unrolled: 1-line block ×3, first 2 shown]
	v_mul_f64 v[170:171], v[32:33], s[26:27]
	v_mul_f64 v[172:173], v[32:33], s[54:55]
	v_add_f64 v[4:5], v[54:55], v[4:5]
	v_add_f64 v[16:17], v[130:131], v[44:45]
	;; [unrolled: 1-line block ×5, first 2 shown]
	v_mul_f64 v[174:175], v[32:33], s[28:29]
	v_add_f64 v[64:65], v[134:135], v[64:65]
	v_mul_f64 v[50:51], v[32:33], s[30:31]
	v_add_f64 v[106:107], v[136:137], v[106:107]
	;; [unrolled: 2-line block ×3, first 2 shown]
	v_add_f64 v[58:59], v[58:59], v[112:113]
	v_add_f64 v[46:47], v[226:227], v[46:47]
	v_add_f64 v[2:3], v[20:21], v[2:3]
	v_mul_f64 v[178:179], v[32:33], s[46:47]
	v_add_f64 v[30:31], v[30:31], v[34:35]
	v_mul_f64 v[180:181], v[32:33], s[36:37]
	v_add_f64 v[60:61], v[218:219], v[60:61]
	v_add_f64 v[132:133], v[220:221], v[168:169]
	v_mul_f64 v[32:33], v[32:33], s[38:39]
	v_add_f64 v[110:111], v[140:141], v[110:111]
	v_add_f64 v[108:109], v[138:139], v[108:109]
	;; [unrolled: 1-line block ×9, first 2 shown]
	v_fma_f64 v[120:121], v[56:57], s[18:19], -v[170:171]
	v_add_f64 v[106:107], v[148:149], v[106:107]
	v_fma_f64 v[122:123], v[56:57], s[18:19], v[170:171]
	v_add_f64 v[126:127], v[238:239], v[126:127]
	v_add_f64 v[58:59], v[154:155], v[58:59]
	;; [unrolled: 1-line block ×4, first 2 shown]
	v_fma_f64 v[34:35], v[56:57], s[16:17], -v[172:173]
	v_add_f64 v[26:27], v[26:27], v[30:31]
	v_fma_f64 v[66:67], v[56:57], s[16:17], v[172:173]
	v_add_f64 v[60:61], v[232:233], v[60:61]
	v_add_f64 v[132:133], v[234:235], v[132:133]
	v_fma_f64 v[114:115], v[56:57], s[0:1], -v[174:175]
	v_fma_f64 v[128:129], v[56:57], s[0:1], v[174:175]
	v_fma_f64 v[130:131], v[56:57], s[20:21], -v[50:51]
	v_fma_f64 v[30:31], v[56:57], s[20:21], v[50:51]
	;; [unrolled: 2-line block ×4, first 2 shown]
	v_add_f64 v[110:111], v[152:153], v[110:111]
	v_add_f64 v[4:5], v[42:43], v[4:5]
	;; [unrolled: 1-line block ×4, first 2 shown]
	v_fma_f64 v[44:45], v[56:57], s[24:25], v[180:181]
	v_add_f64 v[52:53], v[160:161], v[54:55]
	v_fma_f64 v[54:55], v[56:57], s[8:9], -v[32:33]
	v_fma_f64 v[32:33], v[56:57], s[8:9], v[32:33]
	v_mul_f64 v[182:183], v[36:37], s[30:31]
	v_mul_f64 v[184:185], v[36:37], s[38:39]
	v_add_f64 v[22:23], v[22:23], v[26:27]
	v_fma_f64 v[26:27], v[56:57], s[24:25], -v[180:181]
	v_add_f64 v[60:61], v[246:247], v[60:61]
	v_add_f64 v[56:57], v[162:163], v[106:107]
	;; [unrolled: 1-line block ×12, first 2 shown]
	v_add_f64 v[8:9], v[12:13], -v[8:9]
	v_add_f64 v[28:29], v[114:115], v[42:43]
	v_add_f64 v[4:5], v[120:121], v[4:5]
	;; [unrolled: 1-line block ×3, first 2 shown]
	v_mul_f64 v[52:53], v[36:37], s[50:51]
	v_add_f64 v[24:25], v[66:67], v[24:25]
	v_fma_f64 v[106:107], v[48:49], s[20:21], -v[182:183]
	v_add_f64 v[10:11], v[10:11], v[14:15]
	v_add_f64 v[18:19], v[18:19], v[22:23]
	v_mul_f64 v[22:23], v[36:37], s[34:35]
	v_add_f64 v[58:59], v[130:131], v[60:61]
	v_mul_f64 v[60:61], v[36:37], s[28:29]
	;; [unrolled: 2-line block ×4, first 2 shown]
	v_mul_f64 v[36:37], v[36:37], s[22:23]
	v_add_f64 v[108:109], v[164:165], v[108:109]
	v_add_f64 v[16:17], v[122:123], v[16:17]
	v_add_f64 v[20:21], v[34:35], v[20:21]
	v_fma_f64 v[34:35], v[48:49], s[20:21], v[182:183]
	v_add_f64 v[12:13], v[26:27], v[126:127]
	v_fma_f64 v[26:27], v[48:49], s[8:9], -v[184:185]
	v_add_f64 v[38:39], v[44:45], v[38:39]
	v_add_f64 v[44:45], v[54:55], v[46:47]
	v_fma_f64 v[46:47], v[48:49], s[8:9], v[184:185]
	v_add_f64 v[124:125], v[248:249], v[124:125]
	v_add_f64 v[2:3], v[32:33], v[2:3]
	;; [unrolled: 1-line block ×3, first 2 shown]
	v_mul_f64 v[14:15], v[8:9], s[36:37]
	v_add_f64 v[4:5], v[106:107], v[4:5]
	v_fma_f64 v[32:33], v[48:49], s[14:15], -v[22:23]
	v_fma_f64 v[22:23], v[48:49], s[14:15], v[22:23]
	v_fma_f64 v[54:55], v[48:49], s[0:1], -v[60:61]
	v_fma_f64 v[60:61], v[48:49], s[0:1], v[60:61]
	;; [unrolled: 2-line block ×3, first 2 shown]
	v_mul_f64 v[112:113], v[8:9], s[42:43]
	v_fma_f64 v[110:111], v[48:49], s[16:17], -v[36:37]
	v_fma_f64 v[36:37], v[48:49], s[16:17], v[36:37]
	v_add_f64 v[62:63], v[62:63], v[108:109]
	v_fma_f64 v[108:109], v[48:49], s[6:7], -v[50:51]
	v_add_f64 v[16:17], v[34:35], v[16:17]
	v_fma_f64 v[34:35], v[48:49], s[18:19], -v[52:53]
	v_fma_f64 v[52:53], v[48:49], s[18:19], v[52:53]
	v_fma_f64 v[50:51], v[48:49], s[6:7], v[50:51]
	v_mul_f64 v[48:49], v[8:9], s[40:41]
	v_add_f64 v[20:21], v[26:27], v[20:21]
	v_mul_f64 v[26:27], v[8:9], s[30:31]
	v_add_f64 v[24:25], v[46:47], v[24:25]
	;; [unrolled: 2-line block ×4, first 2 shown]
	v_mul_f64 v[32:33], v[8:9], s[22:23]
	v_mul_f64 v[8:9], v[8:9], s[44:45]
	v_add_f64 v[40:41], v[54:55], v[40:41]
	v_add_f64 v[22:23], v[22:23], v[42:43]
	;; [unrolled: 1-line block ×6, first 2 shown]
	v_fma_f64 v[36:37], v[10:11], s[24:25], -v[14:15]
	v_add_f64 v[42:43], v[60:61], v[62:63]
	v_fma_f64 v[60:61], v[10:11], s[6:7], v[112:113]
	v_add_f64 v[34:35], v[34:35], v[58:59]
	v_add_f64 v[30:31], v[52:53], v[30:31]
	;; [unrolled: 1-line block ×3, first 2 shown]
	v_fma_f64 v[50:51], v[10:11], s[0:1], -v[48:49]
	v_fma_f64 v[48:49], v[10:11], s[0:1], v[48:49]
	v_fma_f64 v[56:57], v[10:11], s[20:21], -v[26:27]
	v_fma_f64 v[58:59], v[10:11], s[6:7], -v[112:113]
	;; [unrolled: 1-line block ×3, first 2 shown]
	v_add_f64 v[52:53], v[106:107], v[64:65]
	v_add_f64 v[12:13], v[108:109], v[12:13]
	v_fma_f64 v[64:65], v[10:11], s[8:9], -v[114:115]
	v_fma_f64 v[106:107], v[10:11], s[16:17], -v[32:33]
	;; [unrolled: 1-line block ×3, first 2 shown]
	v_fma_f64 v[8:9], v[10:11], s[14:15], v[8:9]
	v_fma_f64 v[66:67], v[10:11], s[8:9], v[114:115]
	;; [unrolled: 1-line block ×6, first 2 shown]
	v_add_f64 v[4:5], v[36:37], v[4:5]
	v_add_f64 v[14:15], v[50:51], v[20:21]
	;; [unrolled: 1-line block ×16, first 2 shown]
	v_lshlrev_b32_e32 v16, 7, v116
	v_add3_u32 v16, v105, v16, v117
	ds_write2_b64 v16, v[6:7], v[4:5] offset1:1
	ds_write2_b64 v16, v[14:15], v[20:21] offset0:2 offset1:3
	ds_write2_b64 v16, v[24:25], v[30:31] offset0:4 offset1:5
	;; [unrolled: 1-line block ×7, first 2 shown]
	ds_write_b64 v16, v[10:11] offset:128
.LBB0_14:
	s_or_b32 exec_lo, exec_lo, s33
	v_and_b32_e32 v2, 0xff, v116
	v_add_nc_u32_e32 v59, 51, v116
	v_add_nc_u32_e32 v56, 0x66, v116
	;; [unrolled: 1-line block ×4, first 2 shown]
	v_mul_lo_u16 v2, 0xf1, v2
	v_and_b32_e32 v3, 0xff, v59
	v_and_b32_e32 v114, 0xff, v56
	v_mov_b32_e32 v18, 5
	v_and_b32_e32 v5, 0xff, v58
	v_lshrrev_b16 v113, 12, v2
	v_mul_lo_u16 v3, 0xf1, v3
	v_and_b32_e32 v2, 0xff, v57
	v_mul_lo_u16 v6, 0xf1, v114
	s_load_dwordx2 s[8:9], s[4:5], 0x0
	v_mul_lo_u16 v4, v113, 17
	v_lshrrev_b16 v115, 12, v3
	v_mul_lo_u16 v2, 0xf1, v2
	v_mul_lo_u16 v3, 0xf1, v5
	v_lshrrev_b16 v123, 12, v6
	v_sub_nc_u16 v122, v116, v4
	v_mul_lo_u16 v4, v115, 17
	v_lshrrev_b16 v124, 12, v2
	v_lshrrev_b16 v125, 12, v3
	v_mul_lo_u16 v7, v123, 17
	v_lshlrev_b32_sdwa v6, v18, v122 dst_sel:DWORD dst_unused:UNUSED_PAD src0_sel:DWORD src1_sel:BYTE_0
	v_sub_nc_u16 v126, v59, v4
	v_mul_lo_u16 v8, v124, 17
	v_mul_lo_u16 v10, v125, 17
	v_sub_nc_u16 v127, v56, v7
	s_waitcnt lgkmcnt(0)
	v_lshlrev_b32_sdwa v14, v18, v126 dst_sel:DWORD dst_unused:UNUSED_PAD src0_sel:DWORD src1_sel:BYTE_0
	s_barrier
	buffer_gl0_inv
	global_load_dwordx4 v[2:5], v6, s[12:13]
	v_sub_nc_u16 v128, v57, v8
	v_sub_nc_u16 v129, v58, v10
	s_clause 0x2
	global_load_dwordx4 v[10:13], v14, s[12:13]
	global_load_dwordx4 v[6:9], v6, s[12:13] offset:16
	global_load_dwordx4 v[14:17], v14, s[12:13] offset:16
	v_lshlrev_b32_sdwa v22, v18, v127 dst_sel:DWORD dst_unused:UNUSED_PAD src0_sel:DWORD src1_sel:BYTE_0
	v_lshlrev_b32_sdwa v30, v18, v128 dst_sel:DWORD dst_unused:UNUSED_PAD src0_sel:DWORD src1_sel:BYTE_0
	;; [unrolled: 1-line block ×3, first 2 shown]
	s_clause 0x5
	global_load_dwordx4 v[18:21], v22, s[12:13]
	global_load_dwordx4 v[22:25], v22, s[12:13] offset:16
	global_load_dwordx4 v[26:29], v30, s[12:13]
	global_load_dwordx4 v[30:33], v30, s[12:13] offset:16
	;; [unrolled: 2-line block ×3, first 2 shown]
	ds_read_b64 v[50:51], v100
	ds_read2_b64 v[42:45], v104 offset0:127 offset1:178
	ds_read2_b64 v[46:49], v102 offset0:203 offset1:254
	;; [unrolled: 1-line block ×6, first 2 shown]
	v_lshlrev_b32_e32 v52, 2, v116
	v_mov_b32_e32 v53, 0
	ds_read2_b64 v[118:121], v103 offset0:151 offset1:202
	v_mul_lo_u16 v114, 0xa1, v114
	v_and_b32_e32 v113, 0xffff, v113
	s_mov_b32 s4, 0xe8584caa
	v_lshlrev_b64 v[54:55], 4, v[52:53]
	v_mov_b32_e32 v52, 3
	v_lshrrev_b16 v140, 13, v114
	v_mad_u32_u24 v113, 0x198, v113, 0
	v_and_b32_e32 v114, 0xffff, v115
	v_and_b32_e32 v115, 0xffff, v123
	;; [unrolled: 1-line block ×3, first 2 shown]
	v_lshlrev_b32_sdwa v122, v52, v122 dst_sel:DWORD dst_unused:UNUSED_PAD src0_sel:DWORD src1_sel:BYTE_0
	v_and_b32_e32 v124, 0xffff, v125
	v_mad_u32_u24 v141, 0x198, v114, 0
	v_lshlrev_b32_sdwa v145, v52, v126 dst_sel:DWORD dst_unused:UNUSED_PAD src0_sel:DWORD src1_sel:BYTE_0
	v_mad_u32_u24 v142, 0x198, v123, 0
	v_add3_u32 v144, v113, v122, v117
	v_mad_u32_u24 v143, 0x198, v124, 0
	v_lshlrev_b32_sdwa v146, v52, v127 dst_sel:DWORD dst_unused:UNUSED_PAD src0_sel:DWORD src1_sel:BYTE_0
	v_lshlrev_b32_sdwa v147, v52, v128 dst_sel:DWORD dst_unused:UNUSED_PAD src0_sel:DWORD src1_sel:BYTE_0
	;; [unrolled: 1-line block ×3, first 2 shown]
	s_mov_b32 s5, 0xbfebb67a
	s_mov_b32 s7, 0x3febb67a
	;; [unrolled: 1-line block ×3, first 2 shown]
	v_mad_u32_u24 v115, 0x198, v115, 0
	v_add3_u32 v141, v141, v145, v117
	v_add_co_u32 v54, s0, s12, v54
	v_add_co_ci_u32_e64 v55, s0, s13, v55, s0
	v_add3_u32 v115, v115, v146, v117
	s_waitcnt vmcnt(0) lgkmcnt(0)
	s_barrier
	buffer_gl0_inv
	s_mov_b32 s14, 0x134454ff
	s_mov_b32 s15, 0xbfee6f0e
	;; [unrolled: 1-line block ×10, first 2 shown]
	v_mul_f64 v[113:114], v[42:43], v[4:5]
	v_mul_f64 v[4:5], v[92:93], v[4:5]
	;; [unrolled: 1-line block ×20, first 2 shown]
	v_fma_f64 v[92:93], v[92:93], v[2:3], v[113:114]
	v_fma_f64 v[2:3], v[42:43], v[2:3], -v[4:5]
	v_fma_f64 v[4:5], v[78:79], v[6:7], v[122:123]
	v_fma_f64 v[6:7], v[48:49], v[6:7], -v[8:9]
	v_fma_f64 v[8:9], v[94:95], v[10:11], v[124:125]
	v_fma_f64 v[10:11], v[44:45], v[10:11], -v[12:13]
	v_fma_f64 v[12:13], v[88:89], v[14:15], v[126:127]
	v_fma_f64 v[14:15], v[64:65], v[14:15], -v[16:17]
	v_fma_f64 v[16:17], v[84:85], v[18:19], v[128:129]
	v_fma_f64 v[42:43], v[90:91], v[22:23], v[130:131]
	;; [unrolled: 1-line block ×6, first 2 shown]
	v_fma_f64 v[18:19], v[105:106], v[18:19], -v[20:21]
	v_fma_f64 v[20:21], v[66:67], v[22:23], -v[24:25]
	;; [unrolled: 1-line block ×6, first 2 shown]
	v_add_f64 v[30:31], v[0:1], v[92:93]
	v_add_f64 v[36:37], v[50:51], v[2:3]
	v_add3_u32 v122, v142, v147, v117
	v_add3_u32 v123, v143, v148, v117
	v_add_f64 v[32:33], v[92:93], v[4:5]
	v_add_f64 v[34:35], v[2:3], -v[6:7]
	v_add_f64 v[2:3], v[2:3], v[6:7]
	v_add_f64 v[82:83], v[60:61], v[10:11]
	;; [unrolled: 1-line block ×3, first 2 shown]
	v_add_f64 v[78:79], v[10:11], -v[14:15]
	v_add_f64 v[10:11], v[10:11], v[14:15]
	v_add_f64 v[66:67], v[16:17], v[42:43]
	;; [unrolled: 1-line block ×7, first 2 shown]
	v_add_f64 v[88:89], v[18:19], -v[20:21]
	v_add_f64 v[18:19], v[18:19], v[20:21]
	v_add_f64 v[105:106], v[22:23], v[24:25]
	v_add_f64 v[38:39], v[92:93], -v[4:5]
	v_add_f64 v[107:108], v[26:27], v[28:29]
	v_add_f64 v[92:93], v[68:69], v[44:45]
	v_add_f64 v[94:95], v[22:23], -v[24:25]
	v_add_f64 v[8:9], v[8:9], -v[12:13]
	v_add_f64 v[113:114], v[70:71], v[64:65]
	v_fma_f64 v[0:1], v[32:33], -0.5, v[0:1]
	v_add_f64 v[32:33], v[44:45], -v[48:49]
	v_fma_f64 v[2:3], v[2:3], -0.5, v[50:51]
	v_add_f64 v[44:45], v[26:27], -v[28:29]
	;; [unrolled: 2-line block ×3, first 2 shown]
	v_fma_f64 v[10:11], v[10:11], -0.5, v[60:61]
	v_fma_f64 v[66:67], v[66:67], -0.5, v[74:75]
	v_add_f64 v[4:5], v[30:31], v[4:5]
	v_fma_f64 v[68:69], v[80:81], -0.5, v[68:69]
	v_add_f64 v[30:31], v[36:37], v[6:7]
	;; [unrolled: 2-line block ×3, first 2 shown]
	v_add_f64 v[22:23], v[109:110], v[22:23]
	v_fma_f64 v[14:15], v[18:19], -0.5, v[62:63]
	v_fma_f64 v[18:19], v[105:106], -0.5, v[109:110]
	v_add_f64 v[26:27], v[111:112], v[26:27]
	v_add_f64 v[64:65], v[64:65], -v[76:77]
	v_add_f64 v[6:7], v[46:47], v[12:13]
	v_fma_f64 v[46:47], v[107:108], -0.5, v[111:112]
	v_add_f64 v[12:13], v[86:87], v[42:43]
	v_add_f64 v[42:43], v[90:91], v[20:21]
	v_fma_f64 v[50:51], v[34:35], s[4:5], v[0:1]
	v_fma_f64 v[0:1], v[34:35], s[6:7], v[0:1]
	;; [unrolled: 1-line block ×3, first 2 shown]
	v_add_f64 v[20:21], v[92:93], v[48:49]
	v_fma_f64 v[34:35], v[78:79], s[4:5], v[40:41]
	v_fma_f64 v[40:41], v[78:79], s[6:7], v[40:41]
	;; [unrolled: 1-line block ×6, first 2 shown]
	v_add_f64 v[48:49], v[113:114], v[76:77]
	v_fma_f64 v[68:69], v[94:95], s[6:7], v[68:69]
	v_fma_f64 v[76:77], v[8:9], s[6:7], v[10:11]
	;; [unrolled: 1-line block ×7, first 2 shown]
	v_add_f64 v[70:71], v[22:23], v[24:25]
	v_fma_f64 v[84:85], v[32:33], s[6:7], v[18:19]
	v_fma_f64 v[32:33], v[32:33], s[4:5], v[18:19]
	v_add_f64 v[28:29], v[26:27], v[28:29]
	v_fma_f64 v[86:87], v[64:65], s[6:7], v[46:47]
	v_fma_f64 v[46:47], v[64:65], s[4:5], v[46:47]
	ds_write2_b64 v144, v[4:5], v[50:51] offset1:17
	ds_write_b64 v144, v[0:1] offset:272
	ds_write2_b64 v141, v[6:7], v[34:35] offset1:17
	ds_write_b64 v141, v[40:41] offset:272
	ds_write2_b64 v115, v[12:13], v[60:61] offset1:17
	ds_write_b64 v115, v[62:63] offset:272
	ds_write2_b64 v122, v[20:21], v[66:67] offset1:17
	ds_write_b64 v122, v[68:69] offset:272
	ds_write2_b64 v123, v[48:49], v[72:73] offset1:17
	ds_write_b64 v123, v[44:45] offset:272
	v_mul_lo_u16 v44, v140, 51
	s_waitcnt lgkmcnt(0)
	s_barrier
	buffer_gl0_inv
	ds_read_b64 v[105:106], v100
	ds_read2_b64 v[0:3], v101 offset0:153 offset1:204
	ds_read2_b64 v[4:7], v104 offset0:127 offset1:178
	;; [unrolled: 1-line block ×7, first 2 shown]
	s_waitcnt lgkmcnt(0)
	s_barrier
	buffer_gl0_inv
	ds_write2_b64 v144, v[30:31], v[74:75] offset1:17
	ds_write_b64 v144, v[38:39] offset:272
	ds_write2_b64 v141, v[36:37], v[76:77] offset1:17
	ds_write_b64 v141, v[78:79] offset:272
	;; [unrolled: 2-line block ×5, first 2 shown]
	s_waitcnt lgkmcnt(0)
	s_barrier
	buffer_gl0_inv
	s_clause 0x3
	global_load_dwordx4 v[28:31], v[54:55], off offset:544
	global_load_dwordx4 v[32:35], v[54:55], off offset:560
	;; [unrolled: 1-line block ×4, first 2 shown]
	v_mov_b32_e32 v45, 6
	v_sub_nc_u16 v54, v56, v44
	v_lshlrev_b32_sdwa v55, v45, v54 dst_sel:DWORD dst_unused:UNUSED_PAD src0_sel:DWORD src1_sel:BYTE_0
	s_clause 0x3
	global_load_dwordx4 v[44:47], v55, s[12:13] offset:544
	global_load_dwordx4 v[48:51], v55, s[12:13] offset:560
	;; [unrolled: 1-line block ×4, first 2 shown]
	ds_read2_b64 v[68:71], v101 offset0:153 offset1:204
	ds_read2_b64 v[72:75], v104 offset0:127 offset1:178
	;; [unrolled: 1-line block ×6, first 2 shown]
	v_lshlrev_b32_sdwa v52, v52, v54 dst_sel:DWORD dst_unused:UNUSED_PAD src0_sel:DWORD src1_sel:BYTE_0
	ds_read_b64 v[54:55], v100
	ds_read2_b64 v[92:95], v101 offset0:51 offset1:102
	s_waitcnt vmcnt(0) lgkmcnt(0)
	s_barrier
	buffer_gl0_inv
	v_add3_u32 v52, 0, v52, v117
	v_add_nc_u32_e32 v115, 0xc00, v52
	v_add_nc_u32_e32 v173, 0x1000, v52
	v_mul_f64 v[111:112], v[74:75], v[34:35]
	v_mul_f64 v[107:108], v[68:69], v[30:31]
	;; [unrolled: 1-line block ×24, first 2 shown]
	v_fma_f64 v[0:1], v[0:1], v[28:29], v[107:108]
	v_fma_f64 v[6:7], v[6:7], v[32:33], v[111:112]
	;; [unrolled: 1-line block ×4, first 2 shown]
	v_fma_f64 v[68:69], v[68:69], v[28:29], -v[109:110]
	v_fma_f64 v[74:75], v[74:75], v[32:33], -v[113:114]
	v_fma_f64 v[82:83], v[82:83], v[36:37], -v[123:124]
	v_fma_f64 v[76:77], v[76:77], v[40:41], -v[119:120]
	v_fma_f64 v[2:3], v[2:3], v[28:29], v[125:126]
	v_fma_f64 v[20:21], v[20:21], v[32:33], v[127:128]
	;; [unrolled: 1-line block ×8, first 2 shown]
	v_fma_f64 v[28:29], v[70:71], v[28:29], -v[30:31]
	v_fma_f64 v[30:31], v[84:85], v[32:33], -v[34:35]
	;; [unrolled: 1-line block ×8, first 2 shown]
	v_add_f64 v[44:45], v[105:106], v[0:1]
	v_add_f64 v[46:47], v[6:7], v[8:9]
	v_add_f64 v[60:61], v[0:1], -v[6:7]
	v_add_f64 v[62:63], v[14:15], -v[8:9]
	v_add_f64 v[64:65], v[0:1], v[14:15]
	v_add_f64 v[66:67], v[6:7], -v[0:1]
	v_add_f64 v[70:71], v[8:9], -v[14:15]
	v_add_f64 v[72:73], v[54:55], v[68:69]
	v_add_f64 v[78:79], v[74:75], v[76:77]
	;; [unrolled: 1-line block ×6, first 2 shown]
	v_add_f64 v[48:49], v[68:69], -v[82:83]
	v_add_f64 v[84:85], v[68:69], -v[74:75]
	;; [unrolled: 1-line block ×4, first 2 shown]
	v_add_f64 v[141:142], v[18:19], v[4:5]
	v_add_f64 v[143:144], v[22:23], v[12:13]
	;; [unrolled: 1-line block ×3, first 2 shown]
	v_add_f64 v[80:81], v[6:7], -v[8:9]
	v_add_f64 v[86:87], v[82:83], -v[76:77]
	v_add_f64 v[127:128], v[92:93], v[28:29]
	v_add_f64 v[129:130], v[30:31], v[32:33]
	;; [unrolled: 1-line block ×7, first 2 shown]
	v_fma_f64 v[44:45], v[46:47], -0.5, v[105:106]
	v_add_f64 v[50:51], v[74:75], -v[76:77]
	v_add_f64 v[117:118], v[2:3], -v[20:21]
	;; [unrolled: 1-line block ×3, first 2 shown]
	v_add_f64 v[46:47], v[60:61], v[62:63]
	v_fma_f64 v[60:61], v[64:65], -0.5, v[105:106]
	v_add_f64 v[0:1], v[0:1], -v[14:15]
	v_add_f64 v[111:112], v[28:29], -v[34:35]
	;; [unrolled: 1-line block ×5, first 2 shown]
	v_add_f64 v[62:63], v[66:67], v[70:71]
	v_add_f64 v[64:65], v[72:73], v[74:75]
	v_fma_f64 v[66:67], v[78:79], -0.5, v[54:55]
	v_fma_f64 v[54:55], v[88:89], -0.5, v[54:55]
	v_add_f64 v[20:21], v[107:108], v[20:21]
	v_fma_f64 v[72:73], v[109:110], -0.5, v[16:17]
	v_fma_f64 v[16:17], v[121:122], -0.5, v[16:17]
	v_add_f64 v[145:146], v[36:37], -v[42:43]
	v_add_f64 v[149:150], v[4:5], -v[22:23]
	;; [unrolled: 1-line block ×4, first 2 shown]
	v_add_f64 v[68:69], v[68:69], v[90:91]
	v_add_f64 v[22:23], v[141:142], v[22:23]
	v_fma_f64 v[90:91], v[143:144], -0.5, v[18:19]
	v_add_f64 v[125:126], v[10:11], -v[24:25]
	v_add_f64 v[147:148], v[38:39], -v[40:41]
	v_fma_f64 v[18:19], v[153:154], -0.5, v[18:19]
	v_add_f64 v[2:3], v[2:3], -v[24:25]
	v_add_f64 v[133:134], v[28:29], -v[30:31]
	;; [unrolled: 1-line block ×6, first 2 shown]
	v_add_f64 v[70:71], v[84:85], v[86:87]
	v_add_f64 v[30:31], v[127:128], v[30:31]
	v_fma_f64 v[84:85], v[129:130], -0.5, v[92:93]
	v_fma_f64 v[88:89], v[137:138], -0.5, v[92:93]
	v_add_f64 v[38:39], v[159:160], v[38:39]
	v_fma_f64 v[107:108], v[161:162], -0.5, v[94:95]
	v_fma_f64 v[94:95], v[169:170], -0.5, v[94:95]
	v_add_f64 v[6:7], v[6:7], v[8:9]
	v_fma_f64 v[8:9], v[48:49], s[14:15], v[44:45]
	v_add_f64 v[74:75], v[117:118], v[119:120]
	v_fma_f64 v[44:45], v[48:49], s[20:21], v[44:45]
	v_fma_f64 v[117:118], v[50:51], s[20:21], v[60:61]
	;; [unrolled: 1-line block ×3, first 2 shown]
	v_add_f64 v[64:65], v[64:65], v[76:77]
	v_fma_f64 v[76:77], v[0:1], s[20:21], v[66:67]
	v_fma_f64 v[66:67], v[0:1], s[14:15], v[66:67]
	;; [unrolled: 1-line block ×4, first 2 shown]
	v_add_f64 v[10:11], v[20:21], v[10:11]
	v_fma_f64 v[20:21], v[111:112], s[14:15], v[72:73]
	v_fma_f64 v[72:73], v[111:112], s[20:21], v[72:73]
	;; [unrolled: 1-line block ×4, first 2 shown]
	v_add_f64 v[151:152], v[26:27], -v[12:13]
	v_add_f64 v[157:158], v[12:13], -v[26:27]
	v_add_f64 v[12:13], v[22:23], v[12:13]
	v_fma_f64 v[22:23], v[145:146], s[14:15], v[90:91]
	v_add_f64 v[78:79], v[123:124], v[125:126]
	v_fma_f64 v[125:126], v[147:148], s[20:21], v[18:19]
	v_fma_f64 v[18:19], v[147:148], s[14:15], v[18:19]
	;; [unrolled: 1-line block ×3, first 2 shown]
	v_add_f64 v[135:136], v[34:35], -v[32:33]
	v_add_f64 v[139:140], v[32:33], -v[34:35]
	;; [unrolled: 1-line block ×4, first 2 shown]
	v_add_f64 v[30:31], v[30:31], v[32:33]
	v_fma_f64 v[32:33], v[2:3], s[20:21], v[84:85]
	v_fma_f64 v[84:85], v[2:3], s[14:15], v[84:85]
	;; [unrolled: 1-line block ×4, first 2 shown]
	v_add_f64 v[38:39], v[38:39], v[40:41]
	v_fma_f64 v[40:41], v[4:5], s[20:21], v[107:108]
	v_fma_f64 v[127:128], v[163:164], s[14:15], v[94:95]
	;; [unrolled: 1-line block ×4, first 2 shown]
	v_add_f64 v[6:7], v[6:7], v[14:15]
	v_fma_f64 v[14:15], v[50:51], s[18:19], v[44:45]
	v_fma_f64 v[44:45], v[48:49], s[0:1], v[117:118]
	;; [unrolled: 1-line block ×3, first 2 shown]
	v_add_f64 v[50:51], v[64:65], v[82:83]
	v_fma_f64 v[64:65], v[80:81], s[0:1], v[66:67]
	v_fma_f64 v[66:67], v[0:1], s[18:19], v[119:120]
	v_fma_f64 v[0:1], v[0:1], s[0:1], v[54:55]
	v_fma_f64 v[20:21], v[113:114], s[0:1], v[20:21]
	v_fma_f64 v[54:55], v[113:114], s[18:19], v[72:73]
	v_fma_f64 v[72:73], v[111:112], s[0:1], v[121:122]
	v_fma_f64 v[16:17], v[111:112], s[18:19], v[16:17]
	v_add_f64 v[92:93], v[149:150], v[151:152]
	v_fma_f64 v[22:23], v[147:148], s[0:1], v[22:23]
	v_add_f64 v[105:106], v[155:156], v[157:158]
	v_fma_f64 v[60:61], v[80:81], s[18:19], v[76:77]
	v_fma_f64 v[76:77], v[145:146], s[0:1], v[125:126]
	;; [unrolled: 1-line block ×5, first 2 shown]
	v_add_f64 v[86:87], v[133:134], v[135:136]
	v_add_f64 v[28:29], v[28:29], v[139:140]
	;; [unrolled: 1-line block ×5, first 2 shown]
	v_fma_f64 v[24:25], v[131:132], s[18:19], v[32:33]
	v_fma_f64 v[32:33], v[131:132], s[0:1], v[84:85]
	;; [unrolled: 1-line block ×4, first 2 shown]
	v_add_f64 v[12:13], v[12:13], v[26:27]
	v_fma_f64 v[26:27], v[163:164], s[18:19], v[40:41]
	v_fma_f64 v[84:85], v[4:5], s[18:19], v[127:128]
	;; [unrolled: 1-line block ×16, first 2 shown]
	v_add_f64 v[30:31], v[30:31], v[34:35]
	v_add_f64 v[34:35], v[38:39], v[42:43]
	v_fma_f64 v[38:39], v[70:71], s[16:17], v[60:61]
	v_fma_f64 v[42:43], v[70:71], s[16:17], v[64:65]
	;; [unrolled: 1-line block ×10, first 2 shown]
	ds_write2_b64 v101, v[6:7], v[8:9] offset1:51
	ds_write2_b64 v101, v[44:45], v[46:47] offset0:102 offset1:153
	ds_write2_b64 v101, v[14:15], v[10:11] offset0:204 offset1:255
	;; [unrolled: 1-line block ×6, first 2 shown]
	ds_write_b64 v52, v[72:73] offset:5712
	s_waitcnt lgkmcnt(0)
	s_barrier
	buffer_gl0_inv
	ds_read_b64 v[54:55], v100
	ds_read2_b64 v[8:11], v104 offset0:127 offset1:178
	ds_read2_b64 v[16:19], v102 offset0:203 offset1:254
	ds_read2_b64 v[0:3], v101 offset0:51 offset1:102
	ds_read2_b64 v[12:15], v103 offset0:49 offset1:100
	ds_read2_b64 v[20:23], v102 offset0:101 offset1:152
	ds_read2_b64 v[4:7], v101 offset0:153 offset1:204
	ds_read2_b64 v[24:27], v103 offset0:151 offset1:202
	v_fma_f64 v[32:33], v[86:87], s[16:17], v[32:33]
	s_waitcnt lgkmcnt(0)
	s_barrier
	v_fma_f64 v[40:41], v[109:110], s[16:17], v[40:41]
	buffer_gl0_inv
	ds_write2_b64 v101, v[50:51], v[38:39] offset1:51
	ds_write2_b64 v101, v[60:61], v[64:65] offset0:102 offset1:153
	ds_write2_b64 v101, v[42:43], v[30:31] offset0:204 offset1:255
	;; [unrolled: 1-line block ×6, first 2 shown]
	ds_write_b64 v52, v[40:41] offset:5712
	s_waitcnt lgkmcnt(0)
	s_barrier
	buffer_gl0_inv
	s_and_saveexec_b32 s0, vcc_lo
	s_cbranch_execz .LBB0_16
; %bb.15:
	v_lshlrev_b32_e32 v52, 1, v58
	v_add_nc_u32_e32 v123, 0xff, v116
	v_add_nc_u32_e32 v124, 0x1fe, v116
	v_mul_lo_u32 v121, s9, v98
	v_mul_lo_u32 v122, s8, v99
	v_lshlrev_b64 v[28:29], 4, v[52:53]
	v_lshlrev_b32_e32 v52, 1, v57
	v_add_nc_u32_e32 v125, 0x132, v116
	v_mad_u64_u32 v[106:107], null, s2, v116, 0
	v_mul_hi_u32 v127, 0x80808081, v56
	v_add_co_u32 v30, vcc_lo, s12, v28
	v_add_co_ci_u32_e32 v31, vcc_lo, s13, v29, vcc_lo
	v_lshlrev_b64 v[36:37], 4, v[52:53]
	v_add_co_u32 v28, vcc_lo, 0x800, v30
	v_add_co_ci_u32_e32 v29, vcc_lo, 0, v31, vcc_lo
	v_add_co_u32 v32, vcc_lo, 0xee0, v30
	v_lshlrev_b32_e32 v52, 1, v56
	v_add_co_ci_u32_e32 v33, vcc_lo, 0, v31, vcc_lo
	v_add_co_u32 v40, vcc_lo, s12, v36
	v_add_co_ci_u32_e32 v41, vcc_lo, s13, v37, vcc_lo
	v_lshlrev_b64 v[36:37], 4, v[52:53]
	v_add_co_u32 v38, vcc_lo, 0xee0, v40
	v_add_co_ci_u32_e32 v39, vcc_lo, 0, v41, vcc_lo
	v_lshlrev_b32_e32 v52, 1, v59
	v_add_co_u32 v42, vcc_lo, s12, v36
	v_add_co_ci_u32_e32 v43, vcc_lo, s13, v37, vcc_lo
	v_add_co_u32 v36, vcc_lo, 0x800, v40
	v_add_co_ci_u32_e32 v37, vcc_lo, 0, v41, vcc_lo
	v_add_co_u32 v40, vcc_lo, 0x800, v42
	v_lshlrev_b64 v[62:63], 4, v[52:53]
	v_add_co_ci_u32_e32 v41, vcc_lo, 0, v43, vcc_lo
	v_add_co_u32 v60, vcc_lo, 0xee0, v42
	v_lshlrev_b32_e32 v52, 1, v116
	v_add_co_ci_u32_e32 v61, vcc_lo, 0, v43, vcc_lo
	s_clause 0x5
	global_load_dwordx4 v[28:31], v[28:29], off offset:1760
	global_load_dwordx4 v[32:35], v[32:33], off offset:16
	;; [unrolled: 1-line block ×6, first 2 shown]
	v_add_co_u32 v60, vcc_lo, s12, v62
	v_add_co_ci_u32_e32 v61, vcc_lo, s13, v63, vcc_lo
	v_lshlrev_b64 v[52:53], 4, v[52:53]
	v_add_co_u32 v64, vcc_lo, 0xee0, v60
	v_add_co_ci_u32_e32 v65, vcc_lo, 0, v61, vcc_lo
	v_mul_hi_u32 v128, 0x80808081, v57
	v_add_co_u32 v62, vcc_lo, s12, v52
	v_add_co_ci_u32_e32 v63, vcc_lo, s13, v53, vcc_lo
	v_add_co_u32 v52, vcc_lo, 0x800, v60
	v_add_co_ci_u32_e32 v53, vcc_lo, 0, v61, vcc_lo
	v_add_co_u32 v68, vcc_lo, 0x800, v62
	v_add_co_ci_u32_e32 v69, vcc_lo, 0, v63, vcc_lo
	v_add_co_u32 v72, vcc_lo, 0xee0, v62
	v_add_co_ci_u32_e32 v73, vcc_lo, 0, v63, vcc_lo
	s_clause 0x3
	global_load_dwordx4 v[60:63], v[52:53], off offset:1760
	global_load_dwordx4 v[64:67], v[64:65], off offset:16
	;; [unrolled: 1-line block ×4, first 2 shown]
	v_mad_u64_u32 v[52:53], null, s8, v98, 0
	v_mad_u64_u32 v[112:113], null, s2, v123, 0
	v_mul_hi_u32 v129, 0x80808081, v58
	v_mad_u64_u32 v[114:115], null, s2, v124, 0
	v_lshlrev_b64 v[108:109], 4, v[96:97]
	v_mad_u64_u32 v[110:111], null, s2, v59, 0
	v_mad_u64_u32 v[117:118], null, s2, v125, 0
	v_add_nc_u32_e32 v126, 0x231, v116
	v_add3_u32 v53, v53, v122, v121
	v_lshrrev_b32_e32 v127, 7, v127
	v_lshrrev_b32_e32 v128, 7, v128
	v_mad_u64_u32 v[121:122], null, s3, v116, v[107:108]
	v_mad_u64_u32 v[119:120], null, s2, v126, 0
	v_mov_b32_e32 v107, v113
	v_lshrrev_b32_e32 v129, 7, v129
	v_mov_b32_e32 v113, v115
	v_lshlrev_b64 v[52:53], 4, v[52:53]
	v_mad_u64_u32 v[115:116], null, s3, v59, v[111:112]
	v_mov_b32_e32 v59, v118
	v_mad_u32_u24 v139, 0x1fe, v127, v56
	v_mad_u32_u24 v140, 0x1fe, v128, v57
	v_mad_u64_u32 v[56:57], null, s3, v123, v[107:108]
	v_mad_u32_u24 v141, 0x1fe, v129, v58
	v_mad_u64_u32 v[57:58], null, s3, v124, v[113:114]
	v_mov_b32_e32 v111, v120
	v_add_nc_u32_e32 v145, 0x1fe, v140
	v_mad_u64_u32 v[127:128], null, s2, v141, 0
	v_add_nc_u32_e32 v143, 0x1fe, v139
	v_mad_u64_u32 v[122:123], null, s3, v126, v[111:112]
	v_mad_u64_u32 v[123:124], null, s2, v139, 0
	v_mov_b32_e32 v111, v115
	v_add_nc_u32_e32 v144, 0xff, v140
	v_add_nc_u32_e32 v146, 0xff, v141
	v_mov_b32_e32 v107, v121
	v_mov_b32_e32 v115, v57
	v_add_nc_u32_e32 v142, 0xff, v139
	v_mad_u64_u32 v[133:134], null, s2, v145, 0
	v_mov_b32_e32 v120, v122
	v_mad_u64_u32 v[129:130], null, s2, v143, 0
	v_mad_u64_u32 v[131:132], null, s2, v144, 0
	;; [unrolled: 1-line block ×3, first 2 shown]
	v_lshlrev_b64 v[106:107], 4, v[106:107]
	v_add_nc_u32_e32 v147, 0x1fe, v141
	v_add_nc_u32_e32 v92, 0x800, v101
	;; [unrolled: 1-line block ×3, first 2 shown]
	ds_read2_b64 v[76:79], v101 offset0:153 offset1:204
	ds_read2_b64 v[80:83], v101 offset0:51 offset1:102
	v_mad_u64_u32 v[137:138], null, s2, v147, 0
	v_add_nc_u32_e32 v101, 0x400, v101
	ds_read_b64 v[104:105], v100
	ds_read2_b64 v[84:87], v92 offset0:203 offset1:254
	ds_read2_b64 v[88:91], v98 offset0:151 offset1:202
	ds_read2_b64 v[92:95], v92 offset0:101 offset1:152
	ds_read2_b64 v[96:99], v98 offset0:49 offset1:100
	ds_read2_b64 v[100:103], v101 offset0:127 offset1:178
	s_waitcnt vmcnt(3)
	v_mad_u64_u32 v[58:59], null, s3, v125, v[59:60]
	v_add_co_u32 v59, vcc_lo, s10, v52
	v_add_co_ci_u32_e32 v113, vcc_lo, s11, v53, vcc_lo
	v_mad_u64_u32 v[125:126], null, s2, v140, 0
	v_add_co_u32 v151, vcc_lo, v59, v108
	v_add_co_ci_u32_e32 v152, vcc_lo, v113, v109, vcc_lo
	v_mov_b32_e32 v113, v56
	v_lshlrev_b64 v[56:57], 4, v[110:111]
	v_mov_b32_e32 v108, v128
	v_mov_b32_e32 v118, v58
	;; [unrolled: 1-line block ×3, first 2 shown]
	v_lshlrev_b64 v[109:110], 4, v[112:113]
	v_mov_b32_e32 v59, v126
	v_mad_u64_u32 v[52:53], null, s2, v142, 0
	v_lshlrev_b64 v[111:112], 4, v[114:115]
	v_lshlrev_b64 v[115:116], 4, v[119:120]
	v_mad_u64_u32 v[120:121], null, s3, v141, v[108:109]
	v_lshlrev_b64 v[113:114], 4, v[117:118]
	v_mad_u64_u32 v[117:118], null, s3, v139, v[58:59]
	v_mad_u64_u32 v[118:119], null, s3, v140, v[59:60]
	v_mov_b32_e32 v119, v134
	v_add_co_u32 v106, vcc_lo, v151, v106
	v_mov_b32_e32 v58, v130
	v_mov_b32_e32 v59, v132
	v_mov_b32_e32 v108, v136
	v_add_co_ci_u32_e32 v107, vcc_lo, v152, v107, vcc_lo
	v_add_co_u32 v139, vcc_lo, v151, v56
	v_add_co_ci_u32_e32 v140, vcc_lo, v152, v57, vcc_lo
	v_mad_u64_u32 v[56:57], null, s3, v142, v[53:54]
	v_mad_u64_u32 v[141:142], null, s3, v145, v[119:120]
	;; [unrolled: 1-line block ×4, first 2 shown]
	v_add_co_u32 v108, vcc_lo, v151, v109
	v_add_co_ci_u32_e32 v109, vcc_lo, v152, v110, vcc_lo
	v_add_co_u32 v110, vcc_lo, v151, v111
	v_add_co_ci_u32_e32 v111, vcc_lo, v152, v112, vcc_lo
	v_add_co_u32 v112, vcc_lo, v151, v113
	v_mov_b32_e32 v124, v117
	v_add_co_ci_u32_e32 v113, vcc_lo, v152, v114, vcc_lo
	v_mad_u64_u32 v[58:59], null, s3, v144, v[59:60]
	v_add_co_u32 v114, vcc_lo, v151, v115
	v_mov_b32_e32 v126, v118
	v_add_co_ci_u32_e32 v115, vcc_lo, v152, v116, vcc_lo
	v_lshlrev_b64 v[116:117], 4, v[123:124]
	v_mov_b32_e32 v121, v138
	v_mov_b32_e32 v128, v120
	;; [unrolled: 1-line block ×4, first 2 shown]
	v_lshlrev_b64 v[56:57], 4, v[125:126]
	v_mad_u64_u32 v[121:122], null, s3, v147, v[121:122]
	v_mov_b32_e32 v132, v58
	v_lshlrev_b64 v[58:59], 4, v[127:128]
	v_add_co_u32 v116, vcc_lo, v151, v116
	v_add_co_ci_u32_e32 v117, vcc_lo, v152, v117, vcc_lo
	v_lshlrev_b64 v[52:53], 4, v[52:53]
	v_add_co_u32 v128, vcc_lo, v151, v56
	v_lshlrev_b64 v[118:119], 4, v[129:130]
	v_add_co_ci_u32_e32 v129, vcc_lo, v152, v57, vcc_lo
	v_mov_b32_e32 v134, v141
	v_mov_b32_e32 v136, v142
	v_add_co_u32 v130, vcc_lo, v151, v58
	v_mov_b32_e32 v138, v121
	v_lshlrev_b64 v[120:121], 4, v[131:132]
	v_add_co_ci_u32_e32 v131, vcc_lo, v152, v59, vcc_lo
	v_add_co_u32 v132, vcc_lo, v151, v52
	v_lshlrev_b64 v[122:123], 4, v[133:134]
	v_lshlrev_b64 v[124:125], 4, v[135:136]
	v_add_co_ci_u32_e32 v133, vcc_lo, v152, v53, vcc_lo
	v_mul_f64 v[52:53], v[16:17], v[30:31]
	v_mul_f64 v[56:57], v[26:27], v[34:35]
	s_waitcnt lgkmcnt(4)
	v_mul_f64 v[30:31], v[84:85], v[30:31]
	v_mul_f64 v[58:59], v[22:23], v[46:47]
	;; [unrolled: 1-line block ×3, first 2 shown]
	s_waitcnt lgkmcnt(2)
	v_mul_f64 v[46:47], v[94:95], v[46:47]
	v_mul_f64 v[50:51], v[88:89], v[50:51]
	;; [unrolled: 1-line block ×3, first 2 shown]
	s_waitcnt vmcnt(2)
	v_mul_f64 v[145:146], v[12:13], v[66:67]
	s_waitcnt vmcnt(1)
	v_mul_f64 v[147:148], v[8:9], v[70:71]
	;; [unrolled: 2-line block ×3, first 2 shown]
	s_waitcnt lgkmcnt(0)
	v_mul_f64 v[70:71], v[100:101], v[70:71]
	v_mul_f64 v[74:75], v[86:87], v[74:75]
	v_lshlrev_b64 v[126:127], 4, v[137:138]
	v_mul_f64 v[34:35], v[90:91], v[34:35]
	v_mul_f64 v[136:137], v[20:21], v[42:43]
	;; [unrolled: 1-line block ×7, first 2 shown]
	v_add_co_u32 v118, vcc_lo, v151, v118
	v_fma_f64 v[52:53], v[84:85], v[28:29], -v[52:53]
	v_fma_f64 v[56:57], v[90:91], v[32:33], -v[56:57]
	v_fma_f64 v[16:17], v[16:17], v[28:29], v[30:31]
	v_fma_f64 v[28:29], v[94:95], v[44:45], -v[58:59]
	v_fma_f64 v[30:31], v[88:89], v[48:49], -v[134:135]
	v_fma_f64 v[22:23], v[22:23], v[44:45], v[46:47]
	v_fma_f64 v[24:25], v[24:25], v[48:49], v[50:51]
	v_fma_f64 v[44:45], v[102:103], v[60:61], -v[143:144]
	v_fma_f64 v[46:47], v[96:97], v[64:65], -v[145:146]
	;; [unrolled: 1-line block ×4, first 2 shown]
	v_fma_f64 v[8:9], v[8:9], v[68:69], v[70:71]
	v_fma_f64 v[18:19], v[18:19], v[72:73], v[74:75]
	;; [unrolled: 1-line block ×3, first 2 shown]
	v_fma_f64 v[32:33], v[92:93], v[40:41], -v[136:137]
	v_fma_f64 v[20:21], v[20:21], v[40:41], v[42:43]
	v_fma_f64 v[10:11], v[10:11], v[60:61], v[62:63]
	;; [unrolled: 1-line block ×3, first 2 shown]
	v_fma_f64 v[34:35], v[98:99], v[36:37], -v[141:142]
	v_fma_f64 v[14:15], v[14:15], v[36:37], v[38:39]
	v_add_co_ci_u32_e32 v119, vcc_lo, v152, v119, vcc_lo
	v_add_f64 v[38:39], v[78:79], v[52:53]
	v_add_f64 v[12:13], v[52:53], v[56:57]
	v_add_f64 v[64:65], v[52:53], -v[56:57]
	v_add_f64 v[60:61], v[76:77], v[28:29]
	v_add_f64 v[52:53], v[28:29], v[30:31]
	v_add_f64 v[72:73], v[28:29], -v[30:31]
	v_add_f64 v[74:75], v[22:23], v[24:25]
	v_add_f64 v[58:59], v[22:23], -v[24:25]
	v_add_f64 v[68:69], v[44:45], v[46:47]
	v_add_f64 v[98:99], v[104:105], v[48:49]
	;; [unrolled: 1-line block ×5, first 2 shown]
	v_add_f64 v[36:37], v[16:17], -v[26:27]
	v_add_f64 v[42:43], v[16:17], v[26:27]
	v_add_f64 v[16:17], v[6:7], v[16:17]
	;; [unrolled: 1-line block ×6, first 2 shown]
	v_add_f64 v[86:87], v[20:21], -v[14:15]
	v_add_f64 v[20:21], v[2:3], v[20:21]
	v_add_f64 v[92:93], v[32:33], -v[34:35]
	v_add_f64 v[32:33], v[80:81], v[44:45]
	v_add_f64 v[102:103], v[8:9], -v[18:19]
	v_add_f64 v[96:97], v[44:45], -v[46:47]
	v_fma_f64 v[76:77], v[52:53], -0.5, v[76:77]
	v_add_f64 v[44:45], v[0:1], v[10:11]
	v_add_f64 v[94:95], v[10:11], -v[40:41]
	v_add_f64 v[8:9], v[38:39], v[56:57]
	v_fma_f64 v[52:53], v[68:69], -0.5, v[80:81]
	v_add_f64 v[22:23], v[4:5], v[22:23]
	v_fma_f64 v[68:69], v[70:71], -0.5, v[104:105]
	v_add_f64 v[70:71], v[48:49], -v[50:51]
	v_fma_f64 v[54:55], v[28:29], -0.5, v[54:55]
	v_fma_f64 v[78:79], v[12:13], -0.5, v[78:79]
	;; [unrolled: 1-line block ×3, first 2 shown]
	v_add_f64 v[6:7], v[16:17], v[26:27]
	v_fma_f64 v[4:5], v[74:75], -0.5, v[4:5]
	v_fma_f64 v[38:39], v[84:85], -0.5, v[0:1]
	;; [unrolled: 1-line block ×4, first 2 shown]
	v_add_f64 v[18:19], v[100:101], v[18:19]
	v_add_f64 v[0:1], v[20:21], v[14:15]
	;; [unrolled: 1-line block ×6, first 2 shown]
	v_fma_f64 v[32:33], v[58:59], s[4:5], v[76:77]
	v_add_f64 v[14:15], v[44:45], v[40:41]
	v_fma_f64 v[60:61], v[58:59], s[6:7], v[76:77]
	v_add_co_u32 v120, vcc_lo, v151, v120
	v_fma_f64 v[40:41], v[94:95], s[4:5], v[52:53]
	v_fma_f64 v[48:49], v[102:103], s[6:7], v[68:69]
	;; [unrolled: 1-line block ×6, first 2 shown]
	v_add_f64 v[10:11], v[22:23], v[24:25]
	v_fma_f64 v[24:25], v[36:37], s[4:5], v[78:79]
	v_fma_f64 v[50:51], v[96:97], s[4:5], v[38:39]
	v_fma_f64 v[38:39], v[96:97], s[6:7], v[38:39]
	v_fma_f64 v[56:57], v[86:87], s[6:7], v[66:67]
	v_fma_f64 v[54:55], v[92:93], s[4:5], v[26:27]
	v_fma_f64 v[28:29], v[36:37], s[6:7], v[78:79]
	v_fma_f64 v[36:37], v[86:87], s[4:5], v[66:67]
	v_fma_f64 v[34:35], v[92:93], s[6:7], v[26:27]
	v_fma_f64 v[58:59], v[72:73], s[4:5], v[4:5]
	v_fma_f64 v[30:31], v[72:73], s[6:7], v[4:5]
	v_add_co_ci_u32_e32 v121, vcc_lo, v152, v121, vcc_lo
	v_fma_f64 v[26:27], v[64:65], s[4:5], v[80:81]
	v_add_co_u32 v62, vcc_lo, v151, v122
	v_fma_f64 v[22:23], v[64:65], s[6:7], v[80:81]
	v_add_co_ci_u32_e32 v63, vcc_lo, v152, v123, vcc_lo
	v_add_co_u32 v4, vcc_lo, v151, v124
	v_add_co_ci_u32_e32 v5, vcc_lo, v152, v125, vcc_lo
	v_add_co_u32 v64, vcc_lo, v151, v126
	v_add_co_ci_u32_e32 v65, vcc_lo, v152, v127, vcc_lo
	global_store_dwordx4 v[106:107], v[18:21], off
	global_store_dwordx4 v[108:109], v[46:49], off
	;; [unrolled: 1-line block ×15, first 2 shown]
.LBB0_16:
	s_endpgm
	.section	.rodata,"a",@progbits
	.p2align	6, 0x0
	.amdhsa_kernel fft_rtc_back_len765_factors_17_3_5_3_wgs_255_tpt_51_halfLds_dp_op_CI_CI_sbrr_dirReg
		.amdhsa_group_segment_fixed_size 0
		.amdhsa_private_segment_fixed_size 0
		.amdhsa_kernarg_size 104
		.amdhsa_user_sgpr_count 6
		.amdhsa_user_sgpr_private_segment_buffer 1
		.amdhsa_user_sgpr_dispatch_ptr 0
		.amdhsa_user_sgpr_queue_ptr 0
		.amdhsa_user_sgpr_kernarg_segment_ptr 1
		.amdhsa_user_sgpr_dispatch_id 0
		.amdhsa_user_sgpr_flat_scratch_init 0
		.amdhsa_user_sgpr_private_segment_size 0
		.amdhsa_wavefront_size32 1
		.amdhsa_uses_dynamic_stack 0
		.amdhsa_system_sgpr_private_segment_wavefront_offset 0
		.amdhsa_system_sgpr_workgroup_id_x 1
		.amdhsa_system_sgpr_workgroup_id_y 0
		.amdhsa_system_sgpr_workgroup_id_z 0
		.amdhsa_system_sgpr_workgroup_info 0
		.amdhsa_system_vgpr_workitem_id 0
		.amdhsa_next_free_vgpr 252
		.amdhsa_next_free_sgpr 60
		.amdhsa_reserve_vcc 1
		.amdhsa_reserve_flat_scratch 0
		.amdhsa_float_round_mode_32 0
		.amdhsa_float_round_mode_16_64 0
		.amdhsa_float_denorm_mode_32 3
		.amdhsa_float_denorm_mode_16_64 3
		.amdhsa_dx10_clamp 1
		.amdhsa_ieee_mode 1
		.amdhsa_fp16_overflow 0
		.amdhsa_workgroup_processor_mode 1
		.amdhsa_memory_ordered 1
		.amdhsa_forward_progress 0
		.amdhsa_shared_vgpr_count 0
		.amdhsa_exception_fp_ieee_invalid_op 0
		.amdhsa_exception_fp_denorm_src 0
		.amdhsa_exception_fp_ieee_div_zero 0
		.amdhsa_exception_fp_ieee_overflow 0
		.amdhsa_exception_fp_ieee_underflow 0
		.amdhsa_exception_fp_ieee_inexact 0
		.amdhsa_exception_int_div_zero 0
	.end_amdhsa_kernel
	.text
.Lfunc_end0:
	.size	fft_rtc_back_len765_factors_17_3_5_3_wgs_255_tpt_51_halfLds_dp_op_CI_CI_sbrr_dirReg, .Lfunc_end0-fft_rtc_back_len765_factors_17_3_5_3_wgs_255_tpt_51_halfLds_dp_op_CI_CI_sbrr_dirReg
                                        ; -- End function
	.section	.AMDGPU.csdata,"",@progbits
; Kernel info:
; codeLenInByte = 15652
; NumSgprs: 62
; NumVgprs: 252
; ScratchSize: 0
; MemoryBound: 1
; FloatMode: 240
; IeeeMode: 1
; LDSByteSize: 0 bytes/workgroup (compile time only)
; SGPRBlocks: 7
; VGPRBlocks: 31
; NumSGPRsForWavesPerEU: 62
; NumVGPRsForWavesPerEU: 252
; Occupancy: 4
; WaveLimiterHint : 1
; COMPUTE_PGM_RSRC2:SCRATCH_EN: 0
; COMPUTE_PGM_RSRC2:USER_SGPR: 6
; COMPUTE_PGM_RSRC2:TRAP_HANDLER: 0
; COMPUTE_PGM_RSRC2:TGID_X_EN: 1
; COMPUTE_PGM_RSRC2:TGID_Y_EN: 0
; COMPUTE_PGM_RSRC2:TGID_Z_EN: 0
; COMPUTE_PGM_RSRC2:TIDIG_COMP_CNT: 0
	.text
	.p2alignl 6, 3214868480
	.fill 48, 4, 3214868480
	.type	__hip_cuid_b9c51f0295093117,@object ; @__hip_cuid_b9c51f0295093117
	.section	.bss,"aw",@nobits
	.globl	__hip_cuid_b9c51f0295093117
__hip_cuid_b9c51f0295093117:
	.byte	0                               ; 0x0
	.size	__hip_cuid_b9c51f0295093117, 1

	.ident	"AMD clang version 19.0.0git (https://github.com/RadeonOpenCompute/llvm-project roc-6.4.0 25133 c7fe45cf4b819c5991fe208aaa96edf142730f1d)"
	.section	".note.GNU-stack","",@progbits
	.addrsig
	.addrsig_sym __hip_cuid_b9c51f0295093117
	.amdgpu_metadata
---
amdhsa.kernels:
  - .args:
      - .actual_access:  read_only
        .address_space:  global
        .offset:         0
        .size:           8
        .value_kind:     global_buffer
      - .offset:         8
        .size:           8
        .value_kind:     by_value
      - .actual_access:  read_only
        .address_space:  global
        .offset:         16
        .size:           8
        .value_kind:     global_buffer
      - .actual_access:  read_only
        .address_space:  global
        .offset:         24
        .size:           8
        .value_kind:     global_buffer
      - .actual_access:  read_only
        .address_space:  global
        .offset:         32
        .size:           8
        .value_kind:     global_buffer
      - .offset:         40
        .size:           8
        .value_kind:     by_value
      - .actual_access:  read_only
        .address_space:  global
        .offset:         48
        .size:           8
        .value_kind:     global_buffer
      - .actual_access:  read_only
        .address_space:  global
        .offset:         56
        .size:           8
        .value_kind:     global_buffer
      - .offset:         64
        .size:           4
        .value_kind:     by_value
      - .actual_access:  read_only
        .address_space:  global
        .offset:         72
        .size:           8
        .value_kind:     global_buffer
      - .actual_access:  read_only
        .address_space:  global
        .offset:         80
        .size:           8
        .value_kind:     global_buffer
      - .actual_access:  read_only
        .address_space:  global
        .offset:         88
        .size:           8
        .value_kind:     global_buffer
      - .actual_access:  write_only
        .address_space:  global
        .offset:         96
        .size:           8
        .value_kind:     global_buffer
    .group_segment_fixed_size: 0
    .kernarg_segment_align: 8
    .kernarg_segment_size: 104
    .language:       OpenCL C
    .language_version:
      - 2
      - 0
    .max_flat_workgroup_size: 255
    .name:           fft_rtc_back_len765_factors_17_3_5_3_wgs_255_tpt_51_halfLds_dp_op_CI_CI_sbrr_dirReg
    .private_segment_fixed_size: 0
    .sgpr_count:     62
    .sgpr_spill_count: 0
    .symbol:         fft_rtc_back_len765_factors_17_3_5_3_wgs_255_tpt_51_halfLds_dp_op_CI_CI_sbrr_dirReg.kd
    .uniform_work_group_size: 1
    .uses_dynamic_stack: false
    .vgpr_count:     252
    .vgpr_spill_count: 0
    .wavefront_size: 32
    .workgroup_processor_mode: 1
amdhsa.target:   amdgcn-amd-amdhsa--gfx1030
amdhsa.version:
  - 1
  - 2
...

	.end_amdgpu_metadata
